;; amdgpu-corpus repo=ROCm/rocFFT kind=compiled arch=gfx1201 opt=O3
	.text
	.amdgcn_target "amdgcn-amd-amdhsa--gfx1201"
	.amdhsa_code_object_version 6
	.protected	bluestein_single_fwd_len1989_dim1_dp_op_CI_CI ; -- Begin function bluestein_single_fwd_len1989_dim1_dp_op_CI_CI
	.globl	bluestein_single_fwd_len1989_dim1_dp_op_CI_CI
	.p2align	8
	.type	bluestein_single_fwd_len1989_dim1_dp_op_CI_CI,@function
bluestein_single_fwd_len1989_dim1_dp_op_CI_CI: ; @bluestein_single_fwd_len1989_dim1_dp_op_CI_CI
; %bb.0:
	s_load_b128 s[8:11], s[0:1], 0x28
	v_mul_u32_u24_e32 v1, 0x1ad, v0
	s_mov_b32 s2, exec_lo
	v_mov_b32_e32 v4, 0
	s_delay_alu instid0(VALU_DEP_2) | instskip(NEXT) | instid1(VALU_DEP_1)
	v_lshrrev_b32_e32 v1, 16, v1
	v_add_nc_u32_e32 v3, ttmp9, v1
	s_delay_alu instid0(VALU_DEP_1)
	v_mov_b32_e32 v2, v3
	scratch_store_b64 off, v[2:3], off offset:4 ; 8-byte Folded Spill
	s_wait_kmcnt 0x0
	v_cmpx_gt_u64_e64 s[8:9], v[3:4]
	s_cbranch_execz .LBB0_23
; %bb.1:
	s_clause 0x1
	s_load_b64 s[8:9], s[0:1], 0x0
	s_load_b64 s[12:13], s[0:1], 0x38
	v_mul_lo_u16 v1, 0x99, v1
	s_delay_alu instid0(VALU_DEP_1) | instskip(NEXT) | instid1(VALU_DEP_1)
	v_sub_nc_u16 v0, v0, v1
	v_and_b32_e32 v1, 0xffff, v0
	v_cmp_gt_u16_e32 vcc_lo, 0x75, v0
	s_delay_alu instid0(VALU_DEP_2)
	v_lshlrev_b32_e32 v255, 4, v1
	scratch_store_b32 off, v1, off          ; 4-byte Folded Spill
	s_and_saveexec_b32 s3, vcc_lo
	s_cbranch_execz .LBB0_3
; %bb.2:
	s_clause 0x1
	scratch_load_b64 v[0:1], off, off offset:4
	scratch_load_b32 v4, off, off
	s_load_b64 s[4:5], s[0:1], 0x18
	s_wait_kmcnt 0x0
	s_load_b128 s[4:7], s[4:5], 0x0
	s_wait_loadcnt 0x0
	s_wait_kmcnt 0x0
	v_mad_co_u64_u32 v[32:33], null, s4, v4, 0
	s_delay_alu instid0(VALU_DEP_1) | instskip(NEXT) | instid1(VALU_DEP_1)
	v_dual_mov_b32 v2, v0 :: v_dual_mov_b32 v1, v33
	v_mad_co_u64_u32 v[16:17], null, s6, v2, 0
	s_delay_alu instid0(VALU_DEP_1) | instskip(NEXT) | instid1(VALU_DEP_1)
	v_mov_b32_e32 v0, v17
	v_mad_co_u64_u32 v[2:3], null, s7, v2, v[0:1]
	s_delay_alu instid0(VALU_DEP_1)
	v_mov_b32_e32 v17, v2
	v_mad_co_u64_u32 v[18:19], null, s5, v4, v[1:2]
	s_mul_u64 s[4:5], s[4:5], 0x750
	s_clause 0x3
	global_load_b128 v[0:3], v255, s[8:9]
	global_load_b128 v[4:7], v255, s[8:9] offset:1872
	global_load_b128 v[8:11], v255, s[8:9] offset:3744
	global_load_b128 v[12:15], v255, s[8:9] offset:5616
	v_lshlrev_b64_e32 v[34:35], 4, v[16:17]
	v_mov_b32_e32 v33, v18
	s_clause 0x3
	global_load_b128 v[16:19], v255, s[8:9] offset:7488
	global_load_b128 v[20:23], v255, s[8:9] offset:9360
	;; [unrolled: 1-line block ×4, first 2 shown]
	v_add_co_u32 v42, s2, s10, v34
	s_delay_alu instid0(VALU_DEP_1)
	v_add_co_ci_u32_e64 v43, s2, s11, v35, s2
	v_lshlrev_b64_e32 v[40:41], 4, v[32:33]
	s_clause 0x1
	global_load_b128 v[32:35], v255, s[8:9] offset:14976
	global_load_b128 v[36:39], v255, s[8:9] offset:16848
	v_add_co_u32 v56, s2, v42, v40
	s_wait_alu 0xf1ff
	v_add_co_ci_u32_e64 v57, s2, v43, v41, s2
	s_clause 0x1
	global_load_b128 v[40:43], v255, s[8:9] offset:18720
	global_load_b128 v[44:47], v255, s[8:9] offset:20592
	s_wait_alu 0xfffe
	v_add_co_u32 v60, s2, v56, s4
	s_wait_alu 0xf1ff
	v_add_co_ci_u32_e64 v61, s2, s5, v57, s2
	s_clause 0x1
	global_load_b128 v[48:51], v255, s[8:9] offset:22464
	global_load_b128 v[52:55], v255, s[8:9] offset:24336
	v_add_co_u32 v64, s2, v60, s4
	s_wait_alu 0xf1ff
	v_add_co_ci_u32_e64 v65, s2, s5, v61, s2
	s_clause 0x1
	global_load_b128 v[56:59], v[56:57], off
	global_load_b128 v[60:63], v[60:61], off
	v_add_co_u32 v68, s2, v64, s4
	s_wait_alu 0xf1ff
	v_add_co_ci_u32_e64 v69, s2, s5, v65, s2
	s_delay_alu instid0(VALU_DEP_2) | instskip(SKIP_1) | instid1(VALU_DEP_2)
	v_add_co_u32 v72, s2, v68, s4
	s_wait_alu 0xf1ff
	v_add_co_ci_u32_e64 v73, s2, s5, v69, s2
	s_clause 0x1
	global_load_b128 v[64:67], v[64:65], off
	global_load_b128 v[68:71], v[68:69], off
	v_add_co_u32 v76, s2, v72, s4
	s_wait_alu 0xf1ff
	v_add_co_ci_u32_e64 v77, s2, s5, v73, s2
	global_load_b128 v[72:75], v[72:73], off
	v_add_co_u32 v80, s2, v76, s4
	s_wait_alu 0xf1ff
	v_add_co_ci_u32_e64 v81, s2, s5, v77, s2
	;; [unrolled: 4-line block ×12, first 2 shown]
	s_clause 0x1
	global_load_b128 v[116:119], v255, s[8:9] offset:26208
	global_load_b128 v[120:123], v255, s[8:9] offset:28080
	global_load_b128 v[124:127], v[124:125], off
	global_load_b128 v[128:131], v255, s[8:9] offset:29952
	global_load_b128 v[132:135], v[132:133], off
	s_wait_loadcnt 0x13
	v_mul_f64_e32 v[136:137], v[58:59], v[2:3]
	v_mul_f64_e32 v[2:3], v[56:57], v[2:3]
	s_wait_loadcnt 0x12
	v_mul_f64_e32 v[138:139], v[62:63], v[6:7]
	v_mul_f64_e32 v[6:7], v[60:61], v[6:7]
	;; [unrolled: 3-line block ×14, first 2 shown]
	v_fma_f64 v[54:55], v[56:57], v[0:1], v[136:137]
	v_fma_f64 v[56:57], v[58:59], v[0:1], -v[2:3]
	v_fma_f64 v[0:1], v[60:61], v[4:5], v[138:139]
	v_fma_f64 v[2:3], v[62:63], v[4:5], -v[6:7]
	s_wait_loadcnt 0x4
	v_mul_f64_e32 v[166:167], v[114:115], v[118:119]
	v_mul_f64_e32 v[118:119], v[112:113], v[118:119]
	s_wait_loadcnt 0x2
	v_mul_f64_e32 v[168:169], v[126:127], v[122:123]
	v_mul_f64_e32 v[122:123], v[124:125], v[122:123]
	;; [unrolled: 3-line block ×3, first 2 shown]
	v_fma_f64 v[4:5], v[64:65], v[8:9], v[140:141]
	v_fma_f64 v[6:7], v[66:67], v[8:9], -v[10:11]
	v_fma_f64 v[8:9], v[68:69], v[12:13], v[142:143]
	v_fma_f64 v[10:11], v[70:71], v[12:13], -v[14:15]
	v_fma_f64 v[12:13], v[72:73], v[16:17], v[144:145]
	v_fma_f64 v[14:15], v[74:75], v[16:17], -v[18:19]
	v_fma_f64 v[16:17], v[76:77], v[20:21], v[146:147]
	v_fma_f64 v[18:19], v[78:79], v[20:21], -v[22:23]
	v_fma_f64 v[20:21], v[80:81], v[24:25], v[148:149]
	v_fma_f64 v[22:23], v[82:83], v[24:25], -v[26:27]
	v_fma_f64 v[24:25], v[84:85], v[28:29], v[150:151]
	v_fma_f64 v[26:27], v[86:87], v[28:29], -v[30:31]
	v_fma_f64 v[28:29], v[88:89], v[32:33], v[152:153]
	v_fma_f64 v[30:31], v[90:91], v[32:33], -v[34:35]
	v_fma_f64 v[32:33], v[92:93], v[36:37], v[154:155]
	v_fma_f64 v[34:35], v[94:95], v[36:37], -v[38:39]
	v_fma_f64 v[36:37], v[96:97], v[40:41], v[156:157]
	v_fma_f64 v[38:39], v[98:99], v[40:41], -v[42:43]
	v_fma_f64 v[40:41], v[100:101], v[44:45], v[158:159]
	v_fma_f64 v[42:43], v[102:103], v[44:45], -v[46:47]
	v_fma_f64 v[44:45], v[104:105], v[48:49], v[160:161]
	v_fma_f64 v[46:47], v[106:107], v[48:49], -v[50:51]
	v_fma_f64 v[48:49], v[108:109], v[52:53], v[162:163]
	v_fma_f64 v[50:51], v[110:111], v[52:53], -v[164:165]
	v_fma_f64 v[58:59], v[112:113], v[116:117], v[166:167]
	v_fma_f64 v[60:61], v[114:115], v[116:117], -v[118:119]
	v_fma_f64 v[62:63], v[124:125], v[120:121], v[168:169]
	v_fma_f64 v[64:65], v[126:127], v[120:121], -v[122:123]
	v_fma_f64 v[66:67], v[132:133], v[128:129], v[170:171]
	v_fma_f64 v[68:69], v[134:135], v[128:129], -v[130:131]
	ds_store_b128 v255, v[54:57]
	ds_store_b128 v255, v[0:3] offset:1872
	ds_store_b128 v255, v[4:7] offset:3744
	;; [unrolled: 1-line block ×16, first 2 shown]
.LBB0_3:
	s_or_b32 exec_lo, exec_lo, s3
	s_clause 0x1
	s_load_b64 s[4:5], s[0:1], 0x20
	s_load_b64 s[2:3], s[0:1], 0x8
	global_wb scope:SCOPE_SE
	s_wait_storecnt_dscnt 0x0
	s_wait_kmcnt 0x0
	s_barrier_signal -1
	s_barrier_wait -1
	global_inv scope:SCOPE_SE
                                        ; implicit-def: $vgpr0_vgpr1
                                        ; implicit-def: $vgpr16_vgpr17
                                        ; implicit-def: $vgpr20_vgpr21
                                        ; implicit-def: $vgpr24_vgpr25
                                        ; implicit-def: $vgpr28_vgpr29
                                        ; implicit-def: $vgpr32_vgpr33
                                        ; implicit-def: $vgpr36_vgpr37
                                        ; implicit-def: $vgpr40_vgpr41
                                        ; implicit-def: $vgpr48_vgpr49
                                        ; implicit-def: $vgpr52_vgpr53
                                        ; implicit-def: $vgpr56_vgpr57
                                        ; implicit-def: $vgpr64_vgpr65
                                        ; implicit-def: $vgpr68_vgpr69
                                        ; implicit-def: $vgpr44_vgpr45
                                        ; implicit-def: $vgpr12_vgpr13
                                        ; implicit-def: $vgpr8_vgpr9
                                        ; implicit-def: $vgpr4_vgpr5
	s_and_saveexec_b32 s0, vcc_lo
	s_cbranch_execz .LBB0_5
; %bb.4:
	ds_load_b128 v[0:3], v255
	ds_load_b128 v[16:19], v255 offset:1872
	ds_load_b128 v[20:23], v255 offset:3744
	;; [unrolled: 1-line block ×16, first 2 shown]
.LBB0_5:
	s_wait_alu 0xfffe
	s_or_b32 exec_lo, exec_lo, s0
	s_wait_dscnt 0x0
	v_add_f64_e64 v[166:167], v[18:19], -v[6:7]
	s_mov_b32 s0, 0x5d8e7cdc
	s_mov_b32 s1, 0xbfd71e95
	v_add_f64_e32 v[160:161], v[16:17], v[4:5]
	v_add_f64_e64 v[86:87], v[22:23], -v[10:11]
	s_mov_b32 s6, 0x370991
	s_mov_b32 s10, 0x2a9d6da3
	;; [unrolled: 1-line block ×4, first 2 shown]
	v_add_f64_e32 v[72:73], v[20:21], v[8:9]
	v_add_f64_e64 v[178:179], v[16:17], -v[4:5]
	v_add_f64_e64 v[84:85], v[20:21], -v[8:9]
	s_mov_b32 s14, 0x75d4884
	s_mov_b32 s15, 0x3fe7a5f6
	v_add_f64_e32 v[174:175], v[18:19], v[6:7]
	v_add_f64_e32 v[80:81], v[22:23], v[10:11]
	v_add_f64_e64 v[98:99], v[26:27], -v[14:15]
	s_mov_b32 s18, 0x7c9e640b
	s_mov_b32 s19, 0xbfeca52d
	v_add_f64_e32 v[76:77], v[24:25], v[12:13]
	s_mov_b32 s16, 0x2b2883cd
	s_mov_b32 s17, 0x3fdc86fa
	v_add_f64_e64 v[96:97], v[24:25], -v[12:13]
	v_add_f64_e32 v[92:93], v[26:27], v[14:15]
	v_add_f64_e64 v[110:111], v[30:31], -v[46:47]
	s_mov_b32 s22, 0xeb564b22
	s_mov_b32 s23, 0xbfefdd0d
	v_add_f64_e32 v[88:89], v[28:29], v[44:45]
	s_mov_b32 s20, 0x3259b75e
	s_mov_b32 s21, 0x3fb79ee6
	v_add_f64_e64 v[108:109], v[28:29], -v[44:45]
	v_add_f64_e32 v[100:101], v[30:31], v[46:47]
	v_add_f64_e64 v[146:147], v[34:35], -v[70:71]
	s_mov_b32 s36, 0x923c349f
	s_mov_b32 s37, 0x3feec746
	;; [unrolled: 1-line block ×4, first 2 shown]
	v_add_f64_e32 v[104:105], v[32:33], v[68:69]
	s_wait_alu 0xfffe
	v_mul_f64_e32 v[162:163], s[0:1], v[166:167]
	s_mov_b32 s24, 0xc61f0d01
	s_mov_b32 s25, 0xbfd183b1
	v_add_f64_e64 v[136:137], v[32:33], -v[68:69]
	v_mul_f64_e32 v[62:63], s[10:11], v[86:87]
	v_add_f64_e32 v[128:129], v[34:35], v[70:71]
	v_add_f64_e64 v[164:165], v[38:39], -v[66:67]
	s_mov_b32 s42, 0x6c9a05f6
	s_mov_b32 s43, 0xbfe9895b
	v_add_f64_e32 v[124:125], v[36:37], v[64:65]
	v_mul_f64_e32 v[176:177], s[0:1], v[178:179]
	v_mul_f64_e32 v[74:75], s[10:11], v[84:85]
	s_mov_b32 s28, 0x6ed5f1bb
	s_mov_b32 s29, 0xbfe348c8
	v_add_f64_e64 v[152:153], v[36:37], -v[64:65]
	v_add_f64_e32 v[138:139], v[38:39], v[66:67]
	v_add_f64_e64 v[170:171], v[42:43], -v[58:59]
	s_mov_b32 s40, 0x4363dd80
	s_mov_b32 s41, 0x3fe0d888
	;; [unrolled: 1-line block ×4, first 2 shown]
	v_add_f64_e32 v[132:133], v[40:41], v[56:57]
	v_add_f64_e64 v[158:159], v[40:41], -v[56:57]
	s_mov_b32 s30, 0x910ea3b9
	s_mov_b32 s31, 0xbfeb34fa
	v_add_f64_e32 v[148:149], v[42:43], v[58:59]
	v_add_f64_e64 v[172:173], v[50:51], -v[54:55]
	s_mov_b32 s44, 0xacd6c6b4
	s_mov_b32 s45, 0xbfc7851a
	;; [unrolled: 4-line block ×3, first 2 shown]
	v_add_f64_e32 v[154:155], v[50:51], v[54:55]
	v_mul_f64_e32 v[102:103], s[10:11], v[166:167]
	v_mul_f64_e32 v[180:181], s[22:23], v[86:87]
	;; [unrolled: 1-line block ×4, first 2 shown]
	v_fma_f64 v[60:61], v[160:161], s[6:7], v[162:163]
	v_mul_f64_e32 v[182:183], s[42:43], v[98:99]
	v_mul_f64_e32 v[190:191], s[42:43], v[96:97]
	;; [unrolled: 1-line block ×3, first 2 shown]
	scratch_store_b64 off, v[62:63], off offset:12 ; 8-byte Folded Spill
	v_fma_f64 v[62:63], v[72:73], s[14:15], v[62:63]
	v_mul_f64_e32 v[200:201], s[44:45], v[108:109]
	v_mul_f64_e32 v[196:197], s[40:41], v[146:147]
	;; [unrolled: 1-line block ×4, first 2 shown]
	s_mov_b32 s47, 0x3feca52d
	scratch_store_b64 off, v[74:75], off offset:44 ; 8-byte Folded Spill
	v_fma_f64 v[74:75], v[80:81], s[14:15], -v[74:75]
	s_mov_b32 s46, s18
	v_mul_f64_e32 v[233:234], s[36:37], v[152:153]
	s_mov_b32 s49, 0x3fd71e95
	v_mul_f64_e32 v[192:193], s[46:47], v[170:171]
	;; [unrolled: 2-line block ×3, first 2 shown]
	v_mul_f64_e32 v[188:189], s[42:43], v[86:87]
	v_mul_f64_e32 v[130:131], s[18:19], v[178:179]
	;; [unrolled: 1-line block ×5, first 2 shown]
	s_mov_b32 s51, 0x3fc7851a
	s_mov_b32 s50, s44
	v_mul_f64_e32 v[194:195], s[48:49], v[172:173]
	v_mul_f64_e32 v[198:199], s[50:51], v[98:99]
	v_mul_f64_e32 v[219:220], s[50:51], v[96:97]
	v_mul_f64_e32 v[202:203], s[36:37], v[110:111]
	v_mul_f64_e32 v[156:157], s[44:45], v[168:169]
	v_mul_f64_e32 v[213:214], s[48:49], v[168:169]
	v_mul_f64_e32 v[235:236], s[36:37], v[108:109]
	s_mov_b32 s53, 0x3fe58eea
	s_mov_b32 s52, s10
	v_mul_f64_e32 v[245:246], s[0:1], v[164:165]
	v_mul_f64_e32 v[231:232], s[52:53], v[146:147]
	v_mul_f64_e32 v[249:250], s[52:53], v[136:137]
	v_add_f64_e32 v[60:61], v[0:1], v[60:61]
	v_mul_f64_e32 v[78:79], s[0:1], v[152:153]
	v_mul_f64_e32 v[223:224], s[22:23], v[170:171]
	;; [unrolled: 1-line block ×15, first 2 shown]
	s_mov_b32 s55, 0x3fe9895b
	s_mov_b32 s54, s42
	s_delay_alu instid0(SALU_CYCLE_1) | instskip(SKIP_2) | instid1(VALU_DEP_1)
	v_mul_f64_e32 v[247:248], s[54:55], v[170:171]
	v_add_f64_e32 v[60:61], v[62:63], v[60:61]
	v_fma_f64 v[62:63], v[174:175], s[6:7], -v[176:177]
	v_add_f64_e32 v[62:63], v[2:3], v[62:63]
	s_delay_alu instid0(VALU_DEP_1) | instskip(SKIP_3) | instid1(VALU_DEP_1)
	v_add_f64_e32 v[62:63], v[74:75], v[62:63]
	v_mul_f64_e32 v[74:75], s[18:19], v[98:99]
	scratch_store_b64 off, v[74:75], off offset:28 ; 8-byte Folded Spill
	v_fma_f64 v[74:75], v[76:77], s[16:17], v[74:75]
	v_add_f64_e32 v[60:61], v[74:75], v[60:61]
	v_mul_f64_e32 v[74:75], s[18:19], v[96:97]
	scratch_store_b64 off, v[74:75], off offset:76 ; 8-byte Folded Spill
	v_fma_f64 v[74:75], v[92:93], s[16:17], -v[74:75]
	s_delay_alu instid0(VALU_DEP_1) | instskip(SKIP_3) | instid1(VALU_DEP_1)
	v_add_f64_e32 v[62:63], v[74:75], v[62:63]
	v_mul_f64_e32 v[74:75], s[22:23], v[110:111]
	scratch_store_b64 off, v[74:75], off offset:60 ; 8-byte Folded Spill
	v_fma_f64 v[74:75], v[88:89], s[20:21], v[74:75]
	v_add_f64_e32 v[60:61], v[74:75], v[60:61]
	v_mul_f64_e32 v[74:75], s[22:23], v[108:109]
	scratch_store_b64 off, v[74:75], off offset:92 ; 8-byte Folded Spill
	v_fma_f64 v[74:75], v[100:101], s[20:21], -v[74:75]
	;; [unrolled: 9-line block ×4, first 2 shown]
	s_delay_alu instid0(VALU_DEP_1) | instskip(SKIP_3) | instid1(VALU_DEP_1)
	v_add_f64_e32 v[62:63], v[74:75], v[62:63]
	v_mul_f64_e32 v[74:75], s[38:39], v[170:171]
	scratch_store_b64 off, v[74:75], off offset:156 ; 8-byte Folded Spill
	v_fma_f64 v[74:75], v[132:133], s[30:31], v[74:75]
	v_add_f64_e32 v[60:61], v[74:75], v[60:61]
	v_fma_f64 v[74:75], v[148:149], s[30:31], -v[150:151]
	s_delay_alu instid0(VALU_DEP_1)
	v_add_f64_e32 v[62:63], v[74:75], v[62:63]
	v_mul_f64_e32 v[74:75], s[44:45], v[172:173]
	scratch_store_b64 off, v[74:75], off offset:188 ; 8-byte Folded Spill
	v_fma_f64 v[74:75], v[142:143], s[34:35], v[74:75]
	global_wb scope:SCOPE_SE
	s_wait_storecnt 0x0
	s_barrier_signal -1
	s_barrier_wait -1
	global_inv scope:SCOPE_SE
	v_add_f64_e32 v[112:113], v[74:75], v[60:61]
	v_fma_f64 v[60:61], v[154:155], s[34:35], -v[156:157]
	v_fma_f64 v[74:75], v[80:81], s[20:21], -v[186:187]
	s_delay_alu instid0(VALU_DEP_2) | instskip(SKIP_2) | instid1(VALU_DEP_2)
	v_add_f64_e32 v[114:115], v[60:61], v[62:63]
	v_fma_f64 v[60:61], v[160:161], s[14:15], v[102:103]
	v_fma_f64 v[62:63], v[72:73], s[20:21], v[180:181]
	v_add_f64_e32 v[60:61], v[0:1], v[60:61]
	s_delay_alu instid0(VALU_DEP_1) | instskip(SKIP_1) | instid1(VALU_DEP_1)
	v_add_f64_e32 v[60:61], v[62:63], v[60:61]
	v_fma_f64 v[62:63], v[174:175], s[14:15], -v[106:107]
	v_add_f64_e32 v[62:63], v[2:3], v[62:63]
	s_delay_alu instid0(VALU_DEP_1) | instskip(SKIP_1) | instid1(VALU_DEP_1)
	v_add_f64_e32 v[62:63], v[74:75], v[62:63]
	v_fma_f64 v[74:75], v[76:77], s[28:29], v[182:183]
	v_add_f64_e32 v[60:61], v[74:75], v[60:61]
	v_fma_f64 v[74:75], v[92:93], s[28:29], -v[190:191]
	s_delay_alu instid0(VALU_DEP_1) | instskip(SKIP_1) | instid1(VALU_DEP_1)
	v_add_f64_e32 v[62:63], v[74:75], v[62:63]
	v_fma_f64 v[74:75], v[88:89], s[34:35], v[184:185]
	v_add_f64_e32 v[60:61], v[74:75], v[60:61]
	v_fma_f64 v[74:75], v[100:101], s[34:35], -v[200:201]
	;; [unrolled: 5-line block ×6, first 2 shown]
	v_fma_f64 v[74:75], v[80:81], s[28:29], -v[207:208]
	s_delay_alu instid0(VALU_DEP_2) | instskip(SKIP_2) | instid1(VALU_DEP_2)
	v_add_f64_e32 v[118:119], v[60:61], v[62:63]
	v_fma_f64 v[60:61], v[160:161], s[16:17], v[126:127]
	v_fma_f64 v[62:63], v[72:73], s[28:29], v[188:189]
	v_add_f64_e32 v[60:61], v[0:1], v[60:61]
	s_delay_alu instid0(VALU_DEP_1) | instskip(SKIP_1) | instid1(VALU_DEP_1)
	v_add_f64_e32 v[60:61], v[62:63], v[60:61]
	v_fma_f64 v[62:63], v[174:175], s[16:17], -v[130:131]
	v_add_f64_e32 v[62:63], v[2:3], v[62:63]
	s_delay_alu instid0(VALU_DEP_1) | instskip(SKIP_1) | instid1(VALU_DEP_1)
	v_add_f64_e32 v[62:63], v[74:75], v[62:63]
	v_fma_f64 v[74:75], v[76:77], s[34:35], v[198:199]
	v_add_f64_e32 v[60:61], v[74:75], v[60:61]
	v_fma_f64 v[74:75], v[92:93], s[34:35], -v[219:220]
	s_delay_alu instid0(VALU_DEP_1) | instskip(SKIP_1) | instid1(VALU_DEP_1)
	v_add_f64_e32 v[62:63], v[74:75], v[62:63]
	v_fma_f64 v[74:75], v[88:89], s[24:25], v[202:203]
	v_add_f64_e32 v[60:61], v[74:75], v[60:61]
	v_fma_f64 v[74:75], v[100:101], s[24:25], -v[235:236]
	s_delay_alu instid0(VALU_DEP_1) | instskip(SKIP_1) | instid1(VALU_DEP_1)
	v_add_f64_e32 v[62:63], v[74:75], v[62:63]
	v_fma_f64 v[74:75], v[104:105], s[14:15], v[231:232]
	v_add_f64_e32 v[60:61], v[74:75], v[60:61]
	v_fma_f64 v[74:75], v[128:129], s[14:15], -v[249:250]
	s_delay_alu instid0(VALU_DEP_1) | instskip(SKIP_1) | instid1(VALU_DEP_1)
	v_add_f64_e32 v[62:63], v[74:75], v[62:63]
	v_fma_f64 v[74:75], v[124:125], s[6:7], v[245:246]
	v_add_f64_e32 v[60:61], v[74:75], v[60:61]
	v_fma_f64 v[74:75], v[138:139], s[6:7], -v[78:79]
	s_delay_alu instid0(VALU_DEP_1) | instskip(SKIP_1) | instid1(VALU_DEP_1)
	v_add_f64_e32 v[62:63], v[74:75], v[62:63]
	v_fma_f64 v[74:75], v[132:133], s[20:21], v[223:224]
	v_add_f64_e32 v[60:61], v[74:75], v[60:61]
	v_fma_f64 v[74:75], v[148:149], s[20:21], -v[237:238]
	s_delay_alu instid0(VALU_DEP_1) | instskip(SKIP_1) | instid1(VALU_DEP_1)
	v_add_f64_e32 v[62:63], v[74:75], v[62:63]
	v_fma_f64 v[74:75], v[142:143], s[30:31], v[217:218]
	v_add_f64_e32 v[120:121], v[74:75], v[60:61]
	v_fma_f64 v[60:61], v[154:155], s[30:31], -v[239:240]
	v_fma_f64 v[74:75], v[80:81], s[34:35], -v[227:228]
	s_delay_alu instid0(VALU_DEP_2) | instskip(SKIP_2) | instid1(VALU_DEP_2)
	v_add_f64_e32 v[122:123], v[60:61], v[62:63]
	v_fma_f64 v[60:61], v[160:161], s[20:21], v[134:135]
	v_fma_f64 v[62:63], v[72:73], s[34:35], v[209:210]
	v_add_f64_e32 v[60:61], v[0:1], v[60:61]
	s_delay_alu instid0(VALU_DEP_1) | instskip(SKIP_1) | instid1(VALU_DEP_1)
	v_add_f64_e32 v[60:61], v[62:63], v[60:61]
	v_fma_f64 v[62:63], v[174:175], s[20:21], -v[140:141]
	v_add_f64_e32 v[62:63], v[2:3], v[62:63]
	s_delay_alu instid0(VALU_DEP_1) | instskip(SKIP_1) | instid1(VALU_DEP_1)
	v_add_f64_e32 v[62:63], v[74:75], v[62:63]
	v_fma_f64 v[74:75], v[76:77], s[24:25], v[221:222]
	v_add_f64_e32 v[60:61], v[74:75], v[60:61]
	v_fma_f64 v[74:75], v[92:93], s[24:25], -v[241:242]
	s_delay_alu instid0(VALU_DEP_1) | instskip(SKIP_1) | instid1(VALU_DEP_1)
	v_add_f64_e32 v[62:63], v[74:75], v[62:63]
	v_fma_f64 v[74:75], v[88:89], s[6:7], v[225:226]
	v_add_f64_e32 v[60:61], v[74:75], v[60:61]
	v_fma_f64 v[74:75], v[100:101], s[6:7], -v[251:252]
	;; [unrolled: 5-line block ×3, first 2 shown]
	s_delay_alu instid0(VALU_DEP_1) | instskip(SKIP_1) | instid1(VALU_DEP_1)
	v_add_f64_e32 v[62:63], v[74:75], v[62:63]
	v_mul_f64_e32 v[74:75], s[38:39], v[164:165]
	v_fma_f64 v[90:91], v[124:125], s[30:31], v[74:75]
	s_delay_alu instid0(VALU_DEP_1) | instskip(SKIP_1) | instid1(VALU_DEP_1)
	v_add_f64_e32 v[60:61], v[90:91], v[60:61]
	v_mul_f64_e32 v[90:91], s[38:39], v[152:153]
	v_fma_f64 v[94:95], v[138:139], s[30:31], -v[90:91]
	s_delay_alu instid0(VALU_DEP_1) | instskip(SKIP_1) | instid1(VALU_DEP_1)
	v_add_f64_e32 v[62:63], v[94:95], v[62:63]
	v_fma_f64 v[94:95], v[132:133], s[28:29], v[247:248]
	v_add_f64_e32 v[60:61], v[94:95], v[60:61]
	v_mul_f64_e32 v[94:95], s[54:55], v[158:159]
	s_delay_alu instid0(VALU_DEP_1) | instskip(NEXT) | instid1(VALU_DEP_1)
	v_fma_f64 v[243:244], v[148:149], s[28:29], -v[94:95]
	v_add_f64_e32 v[62:63], v[243:244], v[62:63]
	v_mul_f64_e32 v[243:244], s[52:53], v[172:173]
	s_delay_alu instid0(VALU_DEP_1) | instskip(NEXT) | instid1(VALU_DEP_1)
	v_fma_f64 v[253:254], v[142:143], s[14:15], v[243:244]
	v_add_f64_e32 v[60:61], v[253:254], v[60:61]
	v_mul_f64_e32 v[253:254], s[52:53], v[168:169]
	s_delay_alu instid0(VALU_DEP_1) | instskip(NEXT) | instid1(VALU_DEP_1)
	v_fma_f64 v[144:145], v[154:155], s[14:15], -v[253:254]
	v_add_f64_e32 v[62:63], v[144:145], v[62:63]
	s_and_saveexec_b32 s33, vcc_lo
	s_cbranch_execz .LBB0_7
; %bb.6:
	v_add_f64_e32 v[16:17], v[0:1], v[16:17]
	v_add_f64_e32 v[18:19], v[2:3], v[18:19]
	s_mov_b32 s57, 0x3fefdd0d
	s_mov_b32 s56, s22
	s_delay_alu instid0(SALU_CYCLE_1) | instskip(NEXT) | instid1(VALU_DEP_3)
	v_mul_f64_e32 v[144:145], s[56:57], v[172:173]
	v_add_f64_e32 v[16:17], v[16:17], v[20:21]
	s_delay_alu instid0(VALU_DEP_3) | instskip(SKIP_1) | instid1(VALU_DEP_3)
	v_add_f64_e32 v[18:19], v[18:19], v[22:23]
	v_mul_f64_e32 v[20:21], s[24:25], v[174:175]
	v_add_f64_e32 v[16:17], v[16:17], v[24:25]
	s_delay_alu instid0(VALU_DEP_3) | instskip(SKIP_1) | instid1(VALU_DEP_4)
	v_add_f64_e32 v[18:19], v[18:19], v[26:27]
	v_mul_f64_e32 v[26:27], s[20:21], v[160:161]
	v_fma_f64 v[22:23], v[178:179], s[36:37], v[20:21]
	v_fma_f64 v[20:21], v[178:179], s[26:27], v[20:21]
	v_mul_f64_e32 v[24:25], s[20:21], v[174:175]
	v_add_f64_e32 v[16:17], v[16:17], v[28:29]
	v_add_f64_e32 v[18:19], v[18:19], v[30:31]
	v_mul_f64_e32 v[28:29], s[16:17], v[174:175]
	v_mul_f64_e32 v[30:31], s[16:17], v[160:161]
	v_add_f64_e64 v[26:27], v[26:27], -v[134:135]
	v_add_f64_e32 v[24:25], v[140:141], v[24:25]
	v_mul_f64_e32 v[140:141], s[20:21], v[154:155]
	v_add_f64_e32 v[16:17], v[16:17], v[32:33]
	v_add_f64_e32 v[18:19], v[18:19], v[34:35]
	v_mul_f64_e32 v[34:35], s[14:15], v[160:161]
	v_add_f64_e32 v[28:29], v[130:131], v[28:29]
	v_add_f64_e64 v[30:31], v[30:31], -v[126:127]
	v_mul_f64_e32 v[32:33], s[14:15], v[174:175]
	v_add_f64_e32 v[26:27], v[0:1], v[26:27]
	v_add_f64_e32 v[24:25], v[2:3], v[24:25]
	v_add_f64_e32 v[16:17], v[16:17], v[36:37]
	v_add_f64_e32 v[18:19], v[18:19], v[38:39]
	v_mul_f64_e32 v[38:39], s[44:45], v[166:167]
	v_add_f64_e64 v[34:35], v[34:35], -v[102:103]
	v_mul_f64_e32 v[36:37], s[6:7], v[174:175]
	v_add_f64_e32 v[32:33], v[106:107], v[32:33]
	v_add_f64_e32 v[16:17], v[16:17], v[40:41]
	;; [unrolled: 1-line block ×3, first 2 shown]
	v_mul_f64_e32 v[40:41], s[38:39], v[166:167]
	v_mul_f64_e32 v[42:43], s[42:43], v[166:167]
	v_add_f64_e32 v[36:37], v[176:177], v[36:37]
	v_mul_f64_e32 v[176:177], s[24:25], v[124:125]
	v_add_f64_e32 v[16:17], v[16:17], v[48:49]
	v_add_f64_e32 v[18:19], v[18:19], v[50:51]
	v_fma_f64 v[48:49], v[160:161], s[30:31], v[40:41]
	v_fma_f64 v[40:41], v[160:161], s[30:31], -v[40:41]
	v_fma_f64 v[50:51], v[160:161], s[28:29], v[42:43]
	v_fma_f64 v[42:43], v[160:161], s[28:29], -v[42:43]
	v_add_f64_e64 v[176:177], v[176:177], -v[211:212]
	v_add_f64_e32 v[16:17], v[16:17], v[52:53]
	v_add_f64_e32 v[18:19], v[18:19], v[54:55]
	v_mul_f64_e32 v[54:55], s[6:7], v[160:161]
	v_add_f64_e32 v[48:49], v[0:1], v[48:49]
	v_add_f64_e32 v[40:41], v[0:1], v[40:41]
	;; [unrolled: 1-line block ×6, first 2 shown]
	v_add_f64_e64 v[54:55], v[54:55], -v[162:163]
	v_mul_f64_e32 v[162:163], s[24:25], v[154:155]
	s_delay_alu instid0(VALU_DEP_4) | instskip(NEXT) | instid1(VALU_DEP_4)
	v_add_f64_e32 v[16:17], v[16:17], v[64:65]
	v_add_f64_e32 v[18:19], v[18:19], v[66:67]
	;; [unrolled: 1-line block ×9, first 2 shown]
	v_mul_f64_e32 v[28:29], s[30:31], v[92:93]
	v_add_f64_e32 v[70:71], v[2:3], v[36:37]
	v_add_f64_e32 v[16:17], v[16:17], v[44:45]
	;; [unrolled: 1-line block ×3, first 2 shown]
	v_mul_f64_e32 v[44:45], s[26:27], v[166:167]
	v_fma_f64 v[46:47], v[160:161], s[34:35], v[38:39]
	v_fma_f64 v[38:39], v[160:161], s[34:35], -v[38:39]
	v_fma_f64 v[30:31], v[96:97], s[40:41], v[28:29]
	v_mul_f64_e32 v[166:167], s[26:27], v[172:173]
	v_add_f64_e32 v[12:13], v[16:17], v[12:13]
	v_add_f64_e32 v[14:15], v[18:19], v[14:15]
	v_mul_f64_e32 v[16:17], s[28:29], v[174:175]
	v_fma_f64 v[52:53], v[160:161], s[24:25], v[44:45]
	v_fma_f64 v[44:45], v[160:161], s[24:25], -v[44:45]
	v_add_f64_e32 v[46:47], v[0:1], v[46:47]
	v_add_f64_e32 v[38:39], v[0:1], v[38:39]
	v_mul_f64_e32 v[160:161], s[52:53], v[170:171]
	v_add_f64_e32 v[8:9], v[12:13], v[8:9]
	v_mul_f64_e32 v[12:13], s[30:31], v[174:175]
	v_add_f64_e32 v[10:11], v[14:15], v[10:11]
	v_fma_f64 v[18:19], v[178:179], s[54:55], v[16:17]
	v_add_f64_e32 v[52:53], v[0:1], v[52:53]
	v_add_f64_e32 v[44:45], v[0:1], v[44:45]
	v_fma_f64 v[16:17], v[178:179], s[42:43], v[16:17]
	v_add_f64_e32 v[4:5], v[8:9], v[4:5]
	v_mul_f64_e32 v[8:9], s[34:35], v[174:175]
	v_fma_f64 v[14:15], v[178:179], s[40:41], v[12:13]
	v_fma_f64 v[12:13], v[178:179], s[38:39], v[12:13]
	v_add_f64_e32 v[6:7], v[10:11], v[6:7]
	v_add_f64_e32 v[58:59], v[2:3], v[18:19]
	;; [unrolled: 1-line block ×5, first 2 shown]
	v_mul_f64_e32 v[174:175], s[20:21], v[80:81]
	v_fma_f64 v[10:11], v[178:179], s[50:51], v[8:9]
	v_fma_f64 v[8:9], v[178:179], s[44:45], v[8:9]
	v_add_f64_e32 v[56:57], v[2:3], v[12:13]
	v_mul_f64_e32 v[12:13], s[6:7], v[80:81]
	v_add_f64_e32 v[14:15], v[2:3], v[14:15]
	v_mul_f64_e32 v[178:179], s[30:31], v[104:105]
	;; [unrolled: 2-line block ×3, first 2 shown]
	v_add_f64_e32 v[10:11], v[2:3], v[10:11]
	v_add_f64_e32 v[8:9], v[2:3], v[8:9]
	v_fma_f64 v[0:1], v[84:85], s[0:1], v[12:13]
	v_fma_f64 v[12:13], v[84:85], s[48:49], v[12:13]
	v_add_f64_e64 v[178:179], v[178:179], -v[196:197]
	v_add_f64_e32 v[16:17], v[174:175], v[16:17]
	v_add_f64_e64 v[180:181], v[186:187], -v[180:181]
	v_mul_f64_e32 v[186:187], s[28:29], v[76:77]
	v_mul_f64_e32 v[174:175], s[34:35], v[88:89]
	v_add_f64_e32 v[0:1], v[0:1], v[10:11]
	v_mul_f64_e32 v[10:11], s[48:49], v[86:87]
	v_add_f64_e32 v[8:9], v[12:13], v[8:9]
	v_fma_f64 v[12:13], v[96:97], s[38:39], v[28:29]
	v_fma_f64 v[28:29], v[142:143], s[20:21], -v[144:145]
	v_add_f64_e32 v[18:19], v[180:181], v[18:19]
	v_add_f64_e64 v[182:183], v[186:187], -v[182:183]
	v_add_f64_e64 v[174:175], v[174:175], -v[184:185]
	v_mul_f64_e32 v[180:181], s[34:35], v[76:77]
	v_mul_f64_e32 v[184:185], s[28:29], v[154:155]
	;; [unrolled: 1-line block ×4, first 2 shown]
	v_add_f64_e32 v[0:1], v[30:31], v[0:1]
	v_fma_f64 v[2:3], v[72:73], s[6:7], v[10:11]
	v_mul_f64_e32 v[30:31], s[38:39], v[98:99]
	v_fma_f64 v[10:11], v[72:73], s[6:7], -v[10:11]
	v_add_f64_e32 v[8:9], v[12:13], v[8:9]
	v_add_f64_e32 v[18:19], v[182:183], v[18:19]
	v_mul_f64_e32 v[182:183], s[0:1], v[170:171]
	v_add_f64_e64 v[180:181], v[180:181], -v[198:199]
	v_mul_f64_e32 v[198:199], s[16:17], v[154:155]
	v_add_f64_e32 v[2:3], v[2:3], v[46:47]
	v_fma_f64 v[32:33], v[76:77], s[30:31], v[30:31]
	v_add_f64_e32 v[10:11], v[10:11], v[38:39]
	v_fma_f64 v[12:13], v[76:77], s[30:31], -v[30:31]
	v_mul_f64_e32 v[38:39], s[46:47], v[86:87]
	v_mul_f64_e32 v[30:31], s[30:31], v[128:129]
	v_add_f64_e32 v[18:19], v[174:175], v[18:19]
	v_mul_f64_e32 v[174:175], s[6:7], v[124:125]
	v_add_f64_e32 v[2:3], v[32:33], v[2:3]
	;; [unrolled: 2-line block ×3, first 2 shown]
	v_add_f64_e32 v[30:31], v[215:216], v[30:31]
	v_add_f64_e32 v[18:19], v[178:179], v[18:19]
	v_mul_f64_e32 v[178:179], s[28:29], v[72:73]
	v_add_f64_e64 v[174:175], v[174:175], -v[245:246]
	v_fma_f64 v[34:35], v[108:109], s[10:11], v[32:33]
	v_fma_f64 v[12:13], v[108:109], s[52:53], v[32:33]
	v_mul_f64_e32 v[32:33], s[34:35], v[100:101]
	v_add_f64_e32 v[18:19], v[176:177], v[18:19]
	v_add_f64_e64 v[178:179], v[178:179], -v[188:189]
	v_mul_f64_e32 v[176:177], s[14:15], v[104:105]
	v_mul_f64_e32 v[188:189], s[24:25], v[80:81]
	v_add_f64_e32 v[0:1], v[34:35], v[0:1]
	v_mul_f64_e32 v[34:35], s[52:53], v[110:111]
	v_add_f64_e32 v[8:9], v[12:13], v[8:9]
	v_add_f64_e32 v[32:33], v[200:201], v[32:33]
	;; [unrolled: 1-line block ×3, first 2 shown]
	v_add_f64_e64 v[176:177], v[176:177], -v[231:232]
	v_mul_f64_e32 v[178:179], s[56:57], v[164:165]
	v_fma_f64 v[36:37], v[88:89], s[14:15], v[34:35]
	v_fma_f64 v[12:13], v[88:89], s[14:15], -v[34:35]
	v_mul_f64_e32 v[34:35], s[28:29], v[92:93]
	v_add_f64_e32 v[22:23], v[180:181], v[22:23]
	v_mul_f64_e32 v[180:181], s[6:7], v[148:149]
	v_add_f64_e32 v[2:3], v[36:37], v[2:3]
	;; [unrolled: 2-line block ×3, first 2 shown]
	v_add_f64_e32 v[34:35], v[190:191], v[34:35]
	s_delay_alu instid0(VALU_DEP_3) | instskip(SKIP_2) | instid1(VALU_DEP_4)
	v_fma_f64 v[46:47], v[136:137], s[54:55], v[36:37]
	v_fma_f64 v[12:13], v[136:137], s[42:43], v[36:37]
	v_mul_f64_e32 v[36:37], s[16:17], v[80:81]
	v_add_f64_e32 v[16:17], v[34:35], v[16:17]
	v_mul_f64_e32 v[34:35], s[16:17], v[148:149]
	v_add_f64_e32 v[0:1], v[46:47], v[0:1]
	;; [unrolled: 2-line block ×3, first 2 shown]
	v_add_f64_e32 v[16:17], v[32:33], v[16:17]
	v_mul_f64_e32 v[32:33], s[16:17], v[132:133]
	v_add_f64_e32 v[34:35], v[205:206], v[34:35]
	v_fma_f64 v[102:103], v[104:105], s[28:29], v[46:47]
	v_fma_f64 v[12:13], v[104:105], s[28:29], -v[46:47]
	v_mul_f64_e32 v[46:47], s[20:21], v[92:93]
	v_add_f64_e32 v[16:17], v[30:31], v[16:17]
	v_add_f64_e64 v[32:33], v[32:33], -v[192:193]
	v_mul_f64_e32 v[30:31], s[6:7], v[154:155]
	v_add_f64_e32 v[2:3], v[102:103], v[2:3]
	v_mul_f64_e32 v[102:103], s[16:17], v[138:139]
	v_add_f64_e32 v[10:11], v[12:13], v[10:11]
	v_add_f64_e32 v[32:33], v[32:33], v[18:19]
	;; [unrolled: 1-line block ×3, first 2 shown]
	s_delay_alu instid0(VALU_DEP_4) | instskip(SKIP_2) | instid1(VALU_DEP_3)
	v_fma_f64 v[106:107], v[152:153], s[18:19], v[102:103]
	v_fma_f64 v[12:13], v[152:153], s[46:47], v[102:103]
	v_mul_f64_e32 v[102:103], s[28:29], v[100:101]
	v_add_f64_e32 v[0:1], v[106:107], v[0:1]
	v_mul_f64_e32 v[106:107], s[46:47], v[164:165]
	s_delay_alu instid0(VALU_DEP_4) | instskip(NEXT) | instid1(VALU_DEP_2)
	v_add_f64_e32 v[8:9], v[12:13], v[8:9]
	v_fma_f64 v[126:127], v[124:125], s[16:17], v[106:107]
	v_fma_f64 v[12:13], v[124:125], s[16:17], -v[106:107]
	v_mul_f64_e32 v[106:107], s[54:55], v[110:111]
	s_delay_alu instid0(VALU_DEP_3) | instskip(SKIP_1) | instid1(VALU_DEP_4)
	v_add_f64_e32 v[2:3], v[126:127], v[2:3]
	v_mul_f64_e32 v[126:127], s[24:25], v[148:149]
	v_add_f64_e32 v[10:11], v[12:13], v[10:11]
	s_delay_alu instid0(VALU_DEP_2) | instskip(SKIP_2) | instid1(VALU_DEP_3)
	v_fma_f64 v[130:131], v[158:159], s[36:37], v[126:127]
	v_fma_f64 v[12:13], v[158:159], s[26:27], v[126:127]
	v_mul_f64_e32 v[126:127], s[6:7], v[128:129]
	v_add_f64_e32 v[0:1], v[130:131], v[0:1]
	v_mul_f64_e32 v[130:131], s[26:27], v[170:171]
	s_delay_alu instid0(VALU_DEP_4) | instskip(SKIP_1) | instid1(VALU_DEP_3)
	v_add_f64_e32 v[8:9], v[12:13], v[8:9]
	v_mul_f64_e32 v[170:171], s[44:45], v[170:171]
	v_fma_f64 v[12:13], v[132:133], s[24:25], -v[130:131]
	v_fma_f64 v[134:135], v[132:133], s[24:25], v[130:131]
	v_mul_f64_e32 v[130:131], s[0:1], v[146:147]
	s_delay_alu instid0(VALU_DEP_3) | instskip(SKIP_1) | instid1(VALU_DEP_4)
	v_add_f64_e32 v[12:13], v[12:13], v[10:11]
	v_fma_f64 v[10:11], v[168:169], s[56:57], v[140:141]
	v_add_f64_e32 v[134:135], v[134:135], v[2:3]
	v_fma_f64 v[2:3], v[168:169], s[22:23], v[140:141]
	v_mul_f64_e32 v[140:141], s[44:45], v[164:165]
	v_mul_f64_e32 v[164:165], s[10:11], v[164:165]
	v_add_f64_e32 v[10:11], v[10:11], v[8:9]
	v_add_f64_e32 v[8:9], v[28:29], v[12:13]
	v_fma_f64 v[12:13], v[84:85], s[18:19], v[36:37]
	v_fma_f64 v[28:29], v[96:97], s[56:57], v[46:47]
	v_add_f64_e32 v[2:3], v[2:3], v[0:1]
	v_fma_f64 v[0:1], v[142:143], s[20:21], v[144:145]
	v_mul_f64_e32 v[144:145], s[14:15], v[148:149]
	v_fma_f64 v[36:37], v[84:85], s[46:47], v[36:37]
	v_add_f64_e32 v[12:13], v[12:13], v[14:15]
	v_fma_f64 v[14:15], v[72:73], s[16:17], v[38:39]
	v_fma_f64 v[38:39], v[72:73], s[16:17], -v[38:39]
	v_add_f64_e32 v[0:1], v[0:1], v[134:135]
	v_mul_f64_e32 v[134:135], s[34:35], v[138:139]
	v_add_f64_e32 v[36:37], v[36:37], v[56:57]
	v_add_f64_e32 v[12:13], v[28:29], v[12:13]
	;; [unrolled: 1-line block ×3, first 2 shown]
	v_mul_f64_e32 v[48:49], s[22:23], v[98:99]
	v_add_f64_e32 v[38:39], v[38:39], v[40:41]
	v_fma_f64 v[40:41], v[96:97], s[22:23], v[46:47]
	v_fma_f64 v[46:47], v[142:143], s[24:25], -v[166:167]
	s_delay_alu instid0(VALU_DEP_4) | instskip(NEXT) | instid1(VALU_DEP_3)
	v_fma_f64 v[28:29], v[76:77], s[20:21], v[48:49]
	v_add_f64_e32 v[36:37], v[40:41], v[36:37]
	v_fma_f64 v[40:41], v[76:77], s[20:21], -v[48:49]
	v_fma_f64 v[48:49], v[142:143], s[16:17], v[172:173]
	s_delay_alu instid0(VALU_DEP_4) | instskip(SKIP_1) | instid1(VALU_DEP_4)
	v_add_f64_e32 v[14:15], v[28:29], v[14:15]
	v_fma_f64 v[28:29], v[108:109], s[42:43], v[102:103]
	v_add_f64_e32 v[38:39], v[40:41], v[38:39]
	v_fma_f64 v[40:41], v[108:109], s[54:55], v[102:103]
	s_delay_alu instid0(VALU_DEP_3) | instskip(SKIP_1) | instid1(VALU_DEP_3)
	v_add_f64_e32 v[12:13], v[28:29], v[12:13]
	v_fma_f64 v[28:29], v[88:89], s[28:29], v[106:107]
	v_add_f64_e32 v[36:37], v[40:41], v[36:37]
	v_fma_f64 v[40:41], v[88:89], s[28:29], -v[106:107]
	s_delay_alu instid0(VALU_DEP_3) | instskip(SKIP_1) | instid1(VALU_DEP_3)
	v_add_f64_e32 v[14:15], v[28:29], v[14:15]
	v_fma_f64 v[28:29], v[136:137], s[48:49], v[126:127]
	v_add_f64_e32 v[38:39], v[40:41], v[38:39]
	v_fma_f64 v[40:41], v[136:137], s[0:1], v[126:127]
	s_delay_alu instid0(VALU_DEP_3) | instskip(SKIP_1) | instid1(VALU_DEP_3)
	v_add_f64_e32 v[12:13], v[28:29], v[12:13]
	v_fma_f64 v[28:29], v[104:105], s[6:7], v[130:131]
	v_add_f64_e32 v[36:37], v[40:41], v[36:37]
	v_fma_f64 v[40:41], v[104:105], s[6:7], -v[130:131]
	s_delay_alu instid0(VALU_DEP_3) | instskip(SKIP_1) | instid1(VALU_DEP_3)
	;; [unrolled: 10-line block ×4, first 2 shown]
	v_add_f64_e32 v[28:29], v[28:29], v[14:15]
	v_fma_f64 v[14:15], v[168:169], s[36:37], v[162:163]
	v_add_f64_e32 v[40:41], v[40:41], v[38:39]
	v_fma_f64 v[38:39], v[168:169], s[26:27], v[162:163]
	s_delay_alu instid0(VALU_DEP_3) | instskip(SKIP_1) | instid1(VALU_DEP_3)
	v_add_f64_e32 v[14:15], v[14:15], v[12:13]
	v_fma_f64 v[12:13], v[142:143], s[24:25], v[166:167]
	v_add_f64_e32 v[38:39], v[38:39], v[36:37]
	v_add_f64_e32 v[36:37], v[46:47], v[40:41]
	v_fma_f64 v[40:41], v[84:85], s[26:27], v[188:189]
	s_delay_alu instid0(VALU_DEP_4) | instskip(SKIP_1) | instid1(VALU_DEP_3)
	v_add_f64_e32 v[12:13], v[12:13], v[28:29]
	v_mul_f64_e32 v[28:29], s[24:25], v[138:139]
	v_add_f64_e32 v[40:41], v[40:41], v[58:59]
	s_delay_alu instid0(VALU_DEP_2) | instskip(NEXT) | instid1(VALU_DEP_1)
	v_add_f64_e32 v[28:29], v[233:234], v[28:29]
	v_add_f64_e32 v[16:17], v[28:29], v[16:17]
	v_mul_f64_e32 v[28:29], s[6:7], v[142:143]
	s_delay_alu instid0(VALU_DEP_2) | instskip(NEXT) | instid1(VALU_DEP_2)
	v_add_f64_e32 v[16:17], v[34:35], v[16:17]
	v_add_f64_e64 v[28:29], v[28:29], -v[194:195]
	v_mul_f64_e32 v[34:35], s[34:35], v[92:93]
	s_delay_alu instid0(VALU_DEP_3) | instskip(NEXT) | instid1(VALU_DEP_3)
	v_add_f64_e32 v[18:19], v[30:31], v[16:17]
	v_add_f64_e32 v[16:17], v[28:29], v[32:33]
	v_mul_f64_e32 v[28:29], s[6:7], v[138:139]
	v_mul_f64_e32 v[32:33], s[24:25], v[100:101]
	v_add_f64_e32 v[34:35], v[219:220], v[34:35]
	v_mul_f64_e32 v[30:31], s[14:15], v[128:129]
	s_delay_alu instid0(VALU_DEP_4) | instskip(SKIP_2) | instid1(VALU_DEP_4)
	v_add_f64_e32 v[28:29], v[78:79], v[28:29]
	v_mul_f64_e32 v[78:79], s[28:29], v[80:81]
	v_add_f64_e32 v[32:33], v[235:236], v[32:33]
	v_add_f64_e32 v[30:31], v[249:250], v[30:31]
	s_delay_alu instid0(VALU_DEP_3) | instskip(NEXT) | instid1(VALU_DEP_1)
	v_add_f64_e32 v[78:79], v[207:208], v[78:79]
	v_add_f64_e32 v[20:21], v[78:79], v[20:21]
	v_mul_f64_e32 v[78:79], s[24:25], v[88:89]
	s_delay_alu instid0(VALU_DEP_2) | instskip(NEXT) | instid1(VALU_DEP_2)
	v_add_f64_e32 v[20:21], v[34:35], v[20:21]
	v_add_f64_e64 v[78:79], v[78:79], -v[202:203]
	v_mul_f64_e32 v[34:35], s[20:21], v[148:149]
	s_delay_alu instid0(VALU_DEP_3) | instskip(NEXT) | instid1(VALU_DEP_3)
	v_add_f64_e32 v[20:21], v[32:33], v[20:21]
	v_add_f64_e32 v[22:23], v[78:79], v[22:23]
	s_delay_alu instid0(VALU_DEP_3)
	v_add_f64_e32 v[34:35], v[237:238], v[34:35]
	v_mul_f64_e32 v[32:33], s[20:21], v[132:133]
	v_mul_f64_e32 v[78:79], s[24:25], v[92:93]
	v_add_f64_e32 v[20:21], v[30:31], v[20:21]
	v_add_f64_e32 v[22:23], v[176:177], v[22:23]
	v_mul_f64_e32 v[30:31], s[30:31], v[154:155]
	v_add_f64_e64 v[32:33], v[32:33], -v[223:224]
	v_add_f64_e32 v[78:79], v[241:242], v[78:79]
	v_mul_f64_e32 v[176:177], s[20:21], v[138:139]
	v_add_f64_e32 v[20:21], v[28:29], v[20:21]
	v_add_f64_e32 v[22:23], v[174:175], v[22:23]
	v_add_f64_e32 v[30:31], v[239:240], v[30:31]
	v_mul_f64_e32 v[28:29], s[30:31], v[142:143]
	v_mul_f64_e32 v[174:175], s[44:45], v[146:147]
	;; [unrolled: 1-line block ×3, first 2 shown]
	v_add_f64_e32 v[20:21], v[34:35], v[20:21]
	v_add_f64_e32 v[32:33], v[32:33], v[22:23]
	v_mul_f64_e32 v[34:35], s[6:7], v[100:101]
	v_add_f64_e64 v[28:29], v[28:29], -v[217:218]
	s_delay_alu instid0(VALU_DEP_4) | instskip(SKIP_1) | instid1(VALU_DEP_4)
	v_add_f64_e32 v[22:23], v[30:31], v[20:21]
	v_mul_f64_e32 v[30:31], s[30:31], v[138:139]
	v_add_f64_e32 v[34:35], v[251:252], v[34:35]
	s_delay_alu instid0(VALU_DEP_4) | instskip(SKIP_4) | instid1(VALU_DEP_4)
	v_add_f64_e32 v[20:21], v[28:29], v[32:33]
	v_mul_f64_e32 v[32:33], s[16:17], v[128:129]
	v_mul_f64_e32 v[28:29], s[28:29], v[148:149]
	v_add_f64_e32 v[30:31], v[90:91], v[30:31]
	v_mul_f64_e32 v[90:91], s[30:31], v[124:125]
	v_add_f64_e32 v[32:33], v[82:83], v[32:33]
	;; [unrolled: 2-line block ×3, first 2 shown]
	v_mul_f64_e32 v[94:95], s[24:25], v[76:77]
	v_add_f64_e64 v[74:75], v[90:91], -v[74:75]
	v_mul_f64_e32 v[90:91], s[34:35], v[72:73]
	v_add_f64_e32 v[82:83], v[227:228], v[82:83]
	s_delay_alu instid0(VALU_DEP_4) | instskip(NEXT) | instid1(VALU_DEP_3)
	v_add_f64_e64 v[94:95], v[94:95], -v[221:222]
	v_add_f64_e64 v[90:91], v[90:91], -v[209:210]
	s_delay_alu instid0(VALU_DEP_3) | instskip(SKIP_1) | instid1(VALU_DEP_3)
	v_add_f64_e32 v[24:25], v[82:83], v[24:25]
	v_mul_f64_e32 v[82:83], s[6:7], v[88:89]
	v_add_f64_e32 v[26:27], v[90:91], v[26:27]
	v_mul_f64_e32 v[90:91], s[18:19], v[110:111]
	s_delay_alu instid0(VALU_DEP_4) | instskip(NEXT) | instid1(VALU_DEP_4)
	v_add_f64_e32 v[24:25], v[78:79], v[24:25]
	v_add_f64_e64 v[82:83], v[82:83], -v[225:226]
	v_mul_f64_e32 v[78:79], s[16:17], v[104:105]
	v_mul_f64_e32 v[110:111], s[38:39], v[110:111]
	v_add_f64_e32 v[26:27], v[94:95], v[26:27]
	v_mul_f64_e32 v[94:95], s[34:35], v[128:129]
	v_add_f64_e32 v[24:25], v[34:35], v[24:25]
	v_mul_f64_e32 v[34:35], s[28:29], v[132:133]
	v_add_f64_e64 v[78:79], v[78:79], -v[229:230]
	v_add_f64_e32 v[26:27], v[82:83], v[26:27]
	v_mul_f64_e32 v[82:83], s[16:17], v[100:101]
	v_add_f64_e32 v[24:25], v[32:33], v[24:25]
	v_add_f64_e64 v[34:35], v[34:35], -v[247:248]
	v_mul_f64_e32 v[32:33], s[14:15], v[154:155]
	v_fma_f64 v[56:57], v[136:137], s[50:51], v[94:95]
	v_add_f64_e32 v[26:27], v[78:79], v[26:27]
	v_mul_f64_e32 v[78:79], s[52:53], v[98:99]
	v_add_f64_e32 v[24:25], v[30:31], v[24:25]
	v_mul_f64_e32 v[30:31], s[14:15], v[142:143]
	v_add_f64_e32 v[32:33], v[253:254], v[32:33]
	v_fma_f64 v[58:59], v[108:109], s[46:47], v[82:83]
	v_add_f64_e32 v[26:27], v[74:75], v[26:27]
	v_mul_f64_e32 v[74:75], s[30:31], v[80:81]
	v_add_f64_e32 v[24:25], v[28:29], v[24:25]
	v_add_f64_e64 v[30:31], v[30:31], -v[243:244]
	s_delay_alu instid0(VALU_DEP_4) | instskip(NEXT) | instid1(VALU_DEP_3)
	v_add_f64_e32 v[28:29], v[34:35], v[26:27]
	v_add_f64_e32 v[26:27], v[32:33], v[24:25]
	s_delay_alu instid0(VALU_DEP_2) | instskip(SKIP_1) | instid1(VALU_DEP_1)
	v_add_f64_e32 v[24:25], v[30:31], v[28:29]
	v_fma_f64 v[28:29], v[84:85], s[40:41], v[74:75]
	v_add_f64_e32 v[28:29], v[28:29], v[68:69]
	v_mul_f64_e32 v[68:69], s[40:41], v[86:87]
	s_delay_alu instid0(VALU_DEP_1) | instskip(NEXT) | instid1(VALU_DEP_1)
	v_fma_f64 v[30:31], v[72:73], s[30:31], -v[68:69]
	v_add_f64_e32 v[30:31], v[30:31], v[44:45]
	v_mul_f64_e32 v[44:45], s[14:15], v[92:93]
	s_delay_alu instid0(VALU_DEP_1) | instskip(SKIP_1) | instid1(VALU_DEP_2)
	v_fma_f64 v[32:33], v[96:97], s[52:53], v[44:45]
	v_fma_f64 v[44:45], v[96:97], s[10:11], v[44:45]
	v_add_f64_e32 v[28:29], v[32:33], v[28:29]
	v_fma_f64 v[32:33], v[76:77], s[14:15], -v[78:79]
	s_delay_alu instid0(VALU_DEP_1) | instskip(SKIP_1) | instid1(VALU_DEP_1)
	v_add_f64_e32 v[30:31], v[32:33], v[30:31]
	v_fma_f64 v[32:33], v[108:109], s[18:19], v[82:83]
	v_add_f64_e32 v[28:29], v[32:33], v[28:29]
	v_fma_f64 v[32:33], v[88:89], s[16:17], -v[90:91]
	s_delay_alu instid0(VALU_DEP_1) | instskip(SKIP_1) | instid1(VALU_DEP_1)
	v_add_f64_e32 v[30:31], v[32:33], v[30:31]
	;; [unrolled: 5-line block ×6, first 2 shown]
	v_fma_f64 v[32:33], v[84:85], s[36:37], v[188:189]
	v_add_f64_e32 v[32:33], v[32:33], v[64:65]
	v_mul_f64_e32 v[64:65], s[36:37], v[86:87]
	s_delay_alu instid0(VALU_DEP_1) | instskip(SKIP_2) | instid1(VALU_DEP_3)
	v_fma_f64 v[34:35], v[72:73], s[24:25], -v[64:65]
	v_fma_f64 v[46:47], v[72:73], s[24:25], v[64:65]
	v_fma_f64 v[64:65], v[168:169], s[54:55], v[184:185]
	v_add_f64_e32 v[34:35], v[34:35], v[42:43]
	v_mul_f64_e32 v[42:43], s[6:7], v[92:93]
	s_delay_alu instid0(VALU_DEP_4) | instskip(SKIP_1) | instid1(VALU_DEP_3)
	v_add_f64_e32 v[46:47], v[46:47], v[50:51]
	v_fma_f64 v[50:51], v[152:153], s[22:23], v[176:177]
	v_fma_f64 v[86:87], v[96:97], s[0:1], v[42:43]
	;; [unrolled: 1-line block ×3, first 2 shown]
	s_delay_alu instid0(VALU_DEP_2) | instskip(SKIP_1) | instid1(VALU_DEP_3)
	v_add_f64_e32 v[32:33], v[86:87], v[32:33]
	v_mul_f64_e32 v[86:87], s[0:1], v[98:99]
	v_add_f64_e32 v[40:41], v[42:43], v[40:41]
	s_delay_alu instid0(VALU_DEP_2) | instskip(SKIP_1) | instid1(VALU_DEP_2)
	v_fma_f64 v[98:99], v[76:77], s[6:7], -v[86:87]
	v_fma_f64 v[42:43], v[76:77], s[6:7], v[86:87]
	v_add_f64_e32 v[34:35], v[98:99], v[34:35]
	v_mul_f64_e32 v[98:99], s[30:31], v[100:101]
	s_delay_alu instid0(VALU_DEP_3) | instskip(NEXT) | instid1(VALU_DEP_2)
	v_add_f64_e32 v[42:43], v[42:43], v[46:47]
	v_fma_f64 v[190:191], v[108:109], s[38:39], v[98:99]
	v_fma_f64 v[46:47], v[108:109], s[40:41], v[98:99]
	s_delay_alu instid0(VALU_DEP_2) | instskip(SKIP_1) | instid1(VALU_DEP_3)
	v_add_f64_e32 v[32:33], v[190:191], v[32:33]
	v_fma_f64 v[190:191], v[88:89], s[30:31], -v[110:111]
	v_add_f64_e32 v[40:41], v[46:47], v[40:41]
	v_fma_f64 v[46:47], v[88:89], s[30:31], v[110:111]
	s_delay_alu instid0(VALU_DEP_3) | instskip(SKIP_1) | instid1(VALU_DEP_3)
	v_add_f64_e32 v[34:35], v[190:191], v[34:35]
	v_mul_f64_e32 v[190:191], s[20:21], v[128:129]
	v_add_f64_e32 v[42:43], v[46:47], v[42:43]
	s_delay_alu instid0(VALU_DEP_2) | instskip(SKIP_1) | instid1(VALU_DEP_2)
	v_fma_f64 v[192:193], v[136:137], s[56:57], v[190:191]
	v_fma_f64 v[46:47], v[136:137], s[22:23], v[190:191]
	v_add_f64_e32 v[32:33], v[192:193], v[32:33]
	v_fma_f64 v[192:193], v[104:105], s[20:21], -v[146:147]
	s_delay_alu instid0(VALU_DEP_3) | instskip(SKIP_1) | instid1(VALU_DEP_3)
	v_add_f64_e32 v[40:41], v[46:47], v[40:41]
	v_fma_f64 v[46:47], v[104:105], s[20:21], v[146:147]
	v_add_f64_e32 v[34:35], v[192:193], v[34:35]
	v_mul_f64_e32 v[192:193], s[14:15], v[138:139]
	s_delay_alu instid0(VALU_DEP_3) | instskip(NEXT) | instid1(VALU_DEP_2)
	v_add_f64_e32 v[42:43], v[46:47], v[42:43]
	v_fma_f64 v[194:195], v[152:153], s[10:11], v[192:193]
	v_fma_f64 v[46:47], v[152:153], s[52:53], v[192:193]
	s_delay_alu instid0(VALU_DEP_2) | instskip(SKIP_1) | instid1(VALU_DEP_3)
	v_add_f64_e32 v[32:33], v[194:195], v[32:33]
	v_fma_f64 v[194:195], v[124:125], s[14:15], -v[164:165]
	v_add_f64_e32 v[40:41], v[46:47], v[40:41]
	v_fma_f64 v[46:47], v[124:125], s[14:15], v[164:165]
	s_delay_alu instid0(VALU_DEP_3) | instskip(SKIP_1) | instid1(VALU_DEP_3)
	v_add_f64_e32 v[34:35], v[194:195], v[34:35]
	v_mul_f64_e32 v[194:195], s[34:35], v[148:149]
	v_add_f64_e32 v[42:43], v[46:47], v[42:43]
	s_delay_alu instid0(VALU_DEP_2) | instskip(SKIP_1) | instid1(VALU_DEP_2)
	v_fma_f64 v[46:47], v[158:159], s[50:51], v[194:195]
	v_fma_f64 v[196:197], v[158:159], s[44:45], v[194:195]
	v_add_f64_e32 v[40:41], v[46:47], v[40:41]
	v_fma_f64 v[46:47], v[132:133], s[34:35], v[170:171]
	s_delay_alu instid0(VALU_DEP_3) | instskip(SKIP_1) | instid1(VALU_DEP_3)
	v_add_f64_e32 v[32:33], v[196:197], v[32:33]
	v_fma_f64 v[196:197], v[132:133], s[34:35], -v[170:171]
	v_add_f64_e32 v[46:47], v[46:47], v[42:43]
	v_fma_f64 v[42:43], v[168:169], s[18:19], v[198:199]
	s_delay_alu instid0(VALU_DEP_3) | instskip(SKIP_1) | instid1(VALU_DEP_3)
	v_add_f64_e32 v[196:197], v[196:197], v[34:35]
	v_fma_f64 v[34:35], v[168:169], s[46:47], v[198:199]
	v_add_f64_e32 v[42:43], v[42:43], v[40:41]
	v_add_f64_e32 v[40:41], v[48:49], v[46:47]
	v_fma_f64 v[46:47], v[84:85], s[38:39], v[74:75]
	v_fma_f64 v[48:49], v[158:159], s[48:49], v[180:181]
	v_add_f64_e32 v[34:35], v[34:35], v[32:33]
	v_fma_f64 v[32:33], v[142:143], s[16:17], -v[172:173]
	scratch_load_b64 v[74:75], off, off offset:28 th:TH_LOAD_LU ; 8-byte Folded Reload
	v_add_f64_e32 v[46:47], v[46:47], v[66:67]
	v_fma_f64 v[66:67], v[72:73], s[30:31], v[68:69]
	scratch_load_b64 v[68:69], off, off offset:108 th:TH_LOAD_LU ; 8-byte Folded Reload
	v_add_f64_e32 v[32:33], v[32:33], v[196:197]
	v_add_f64_e32 v[44:45], v[44:45], v[46:47]
	;; [unrolled: 1-line block ×3, first 2 shown]
	v_fma_f64 v[46:47], v[76:77], s[14:15], v[78:79]
	scratch_load_b64 v[66:67], off, off offset:124 th:TH_LOAD_LU ; 8-byte Folded Reload
	v_add_f64_e32 v[44:45], v[58:59], v[44:45]
	scratch_load_b64 v[58:59], off, off offset:76 th:TH_LOAD_LU ; 8-byte Folded Reload
	v_add_f64_e32 v[46:47], v[46:47], v[52:53]
	v_fma_f64 v[52:53], v[88:89], s[16:17], v[90:91]
	v_add_f64_e32 v[44:45], v[56:57], v[44:45]
	scratch_load_b64 v[56:57], off, off offset:92 th:TH_LOAD_LU ; 8-byte Folded Reload
	v_add_f64_e32 v[46:47], v[52:53], v[46:47]
	v_fma_f64 v[52:53], v[104:105], s[34:35], v[174:175]
	v_add_f64_e32 v[44:45], v[50:51], v[44:45]
	v_fma_f64 v[50:51], v[124:125], s[20:21], v[178:179]
	s_delay_alu instid0(VALU_DEP_3)
	v_add_f64_e32 v[46:47], v[52:53], v[46:47]
	scratch_load_b64 v[52:53], off, off offset:140 th:TH_LOAD_LU ; 8-byte Folded Reload
	v_add_f64_e32 v[44:45], v[48:49], v[44:45]
	v_fma_f64 v[48:49], v[132:133], s[6:7], v[182:183]
	v_add_f64_e32 v[46:47], v[50:51], v[46:47]
	v_fma_f64 v[50:51], v[142:143], s[28:29], v[186:187]
	s_delay_alu instid0(VALU_DEP_2)
	v_add_f64_e32 v[48:49], v[48:49], v[46:47]
	v_add_f64_e32 v[46:47], v[64:65], v[44:45]
	scratch_load_b64 v[64:65], off, off offset:44 th:TH_LOAD_LU ; 8-byte Folded Reload
	v_add_f64_e32 v[44:45], v[50:51], v[48:49]
	scratch_load_b64 v[50:51], off, off offset:172 th:TH_LOAD_LU ; 8-byte Folded Reload
	v_mul_f64_e32 v[48:49], s[28:29], v[138:139]
	s_wait_loadcnt 0x0
	s_delay_alu instid0(VALU_DEP_1) | instskip(SKIP_1) | instid1(VALU_DEP_1)
	v_add_f64_e32 v[48:49], v[50:51], v[48:49]
	v_mul_f64_e32 v[50:51], s[24:25], v[128:129]
	v_add_f64_e32 v[50:51], v[52:53], v[50:51]
	v_mul_f64_e32 v[52:53], s[20:21], v[100:101]
	s_delay_alu instid0(VALU_DEP_1) | instskip(SKIP_1) | instid1(VALU_DEP_1)
	v_add_f64_e32 v[52:53], v[56:57], v[52:53]
	v_mul_f64_e32 v[56:57], s[16:17], v[92:93]
	v_add_f64_e32 v[56:57], v[58:59], v[56:57]
	v_mul_f64_e32 v[58:59], s[14:15], v[80:81]
	s_delay_alu instid0(VALU_DEP_1) | instskip(SKIP_1) | instid1(VALU_DEP_2)
	v_add_f64_e32 v[58:59], v[64:65], v[58:59]
	v_mul_f64_e32 v[64:65], s[28:29], v[124:125]
	v_add_f64_e32 v[58:59], v[58:59], v[70:71]
	s_delay_alu instid0(VALU_DEP_2)
	v_add_f64_e64 v[64:65], v[64:65], -v[66:67]
	v_mul_f64_e32 v[66:67], s[24:25], v[104:105]
	scratch_load_b64 v[70:71], off, off offset:60 th:TH_LOAD_LU ; 8-byte Folded Reload
	v_add_f64_e32 v[56:57], v[56:57], v[58:59]
	v_mul_f64_e32 v[58:59], s[30:31], v[148:149]
	v_add_f64_e64 v[66:67], v[66:67], -v[68:69]
	v_mul_f64_e32 v[68:69], s[14:15], v[72:73]
	scratch_load_b64 v[72:73], off, off offset:12 th:TH_LOAD_LU ; 8-byte Folded Reload
	v_add_f64_e32 v[52:53], v[52:53], v[56:57]
	v_mul_f64_e32 v[56:57], s[30:31], v[132:133]
	v_add_f64_e32 v[58:59], v[150:151], v[58:59]
	s_delay_alu instid0(VALU_DEP_3) | instskip(NEXT) | instid1(VALU_DEP_1)
	v_add_f64_e32 v[50:51], v[50:51], v[52:53]
	v_add_f64_e32 v[48:49], v[48:49], v[50:51]
	s_delay_alu instid0(VALU_DEP_1) | instskip(SKIP_3) | instid1(VALU_DEP_2)
	v_add_f64_e32 v[48:49], v[58:59], v[48:49]
	s_wait_loadcnt 0x0
	v_add_f64_e64 v[68:69], v[68:69], -v[72:73]
	v_mul_f64_e32 v[72:73], s[16:17], v[76:77]
	v_add_f64_e32 v[54:55], v[68:69], v[54:55]
	s_delay_alu instid0(VALU_DEP_2) | instskip(SKIP_1) | instid1(VALU_DEP_2)
	v_add_f64_e64 v[72:73], v[72:73], -v[74:75]
	v_mul_f64_e32 v[68:69], s[20:21], v[88:89]
	v_add_f64_e32 v[54:55], v[72:73], v[54:55]
	s_delay_alu instid0(VALU_DEP_2) | instskip(NEXT) | instid1(VALU_DEP_1)
	v_add_f64_e64 v[68:69], v[68:69], -v[70:71]
	v_add_f64_e32 v[54:55], v[68:69], v[54:55]
	scratch_load_b64 v[68:69], off, off offset:156 th:TH_LOAD_LU ; 8-byte Folded Reload
	v_add_f64_e32 v[52:53], v[66:67], v[54:55]
	v_mul_f64_e32 v[54:55], s[34:35], v[154:155]
	s_delay_alu instid0(VALU_DEP_2)
	v_add_f64_e32 v[50:51], v[64:65], v[52:53]
	scratch_load_b64 v[64:65], off, off offset:188 th:TH_LOAD_LU ; 8-byte Folded Reload
	v_mul_f64_e32 v[52:53], s[34:35], v[142:143]
	v_add_f64_e32 v[54:55], v[156:157], v[54:55]
	s_wait_loadcnt 0x1
	v_add_f64_e64 v[56:57], v[56:57], -v[68:69]
	s_delay_alu instid0(VALU_DEP_1) | instskip(NEXT) | instid1(VALU_DEP_3)
	v_add_f64_e32 v[56:57], v[56:57], v[50:51]
	v_add_f64_e32 v[50:51], v[54:55], v[48:49]
	s_wait_loadcnt 0x0
	v_add_f64_e64 v[52:53], v[52:53], -v[64:65]
	s_delay_alu instid0(VALU_DEP_1) | instskip(SKIP_3) | instid1(VALU_DEP_1)
	v_add_f64_e32 v[48:49], v[52:53], v[56:57]
	scratch_load_b32 v52, off, off          ; 4-byte Folded Reload
	s_wait_loadcnt 0x0
	v_mul_lo_u16 v52, v52, 17
	v_and_b32_e32 v52, 0xffff, v52
	s_delay_alu instid0(VALU_DEP_1)
	v_lshlrev_b32_e32 v52, 4, v52
	ds_store_b128 v52, v[16:19] offset:32
	ds_store_b128 v52, v[120:123] offset:224
	ds_store_b128 v52, v[116:119] offset:240
	ds_store_b128 v52, v[20:23] offset:48
	ds_store_b128 v52, v[24:27] offset:64
	ds_store_b128 v52, v[28:31] offset:80
	ds_store_b128 v52, v[32:35] offset:96
	ds_store_b128 v52, v[36:39] offset:112
	ds_store_b128 v52, v[8:11] offset:128
	ds_store_b128 v52, v[0:3] offset:144
	ds_store_b128 v52, v[12:15] offset:160
	ds_store_b128 v52, v[40:43] offset:176
	ds_store_b128 v52, v[60:63] offset:208
	ds_store_b128 v52, v[44:47] offset:192
	ds_store_b128 v52, v[48:51] offset:16
	ds_store_b128 v52, v[4:7]
	ds_store_b128 v52, v[112:115] offset:256
.LBB0_7:
	s_or_b32 exec_lo, exec_lo, s33
	scratch_load_b32 v254, off, off         ; 4-byte Folded Reload
	s_load_b128 s[4:7], s[4:5], 0x0
	s_mov_b32 s28, 0x42a4c3d2
	s_mov_b32 s26, 0x66966769
	;; [unrolled: 1-line block ×25, first 2 shown]
	s_wait_alu 0xfffe
	s_mov_b32 s36, s22
	s_mov_b32 s39, 0x3fefc445
	;; [unrolled: 1-line block ×5, first 2 shown]
	s_wait_loadcnt 0x0
	v_and_b32_e32 v0, 0xff, v254
	s_delay_alu instid0(VALU_DEP_1) | instskip(NEXT) | instid1(VALU_DEP_1)
	v_mul_lo_u16 v0, 0xf1, v0
	v_lshrrev_b16 v0, 12, v0
	scratch_store_b32 off, v0, off offset:12 ; 4-byte Folded Spill
	v_mul_lo_u16 v0, v0, 17
	s_delay_alu instid0(VALU_DEP_1) | instskip(NEXT) | instid1(VALU_DEP_1)
	v_sub_nc_u16 v0, v254, v0
	v_and_b32_e32 v0, 0xff, v0
	scratch_store_b32 off, v0, off offset:28 ; 4-byte Folded Spill
	v_mul_u32_u24_e32 v0, 12, v0
	global_wb scope:SCOPE_SE
	s_wait_storecnt_dscnt 0x0
	s_wait_kmcnt 0x0
	s_barrier_signal -1
	s_barrier_wait -1
	global_inv scope:SCOPE_SE
	v_lshlrev_b32_e32 v44, 4, v0
	s_clause 0x5
	global_load_b128 v[0:3], v44, s[2:3]
	global_load_b128 v[4:7], v44, s[2:3] offset:176
	global_load_b128 v[12:15], v44, s[2:3] offset:16
	;; [unrolled: 1-line block ×5, first 2 shown]
	ds_load_b128 v[24:27], v255 offset:2448
	ds_load_b128 v[28:31], v255 offset:29376
	ds_load_b128 v[134:137], v255
	ds_load_b128 v[32:35], v255 offset:4896
	ds_load_b128 v[36:39], v255 offset:7344
	;; [unrolled: 1-line block ×4, first 2 shown]
	s_wait_loadcnt_dscnt 0x506
	v_mul_f64_e32 v[45:46], v[26:27], v[2:3]
	v_mul_f64_e32 v[47:48], v[24:25], v[2:3]
	scratch_store_b128 off, v[0:3], off offset:60 ; 16-byte Folded Spill
	s_wait_loadcnt 0x4
	scratch_store_b128 off, v[4:7], off offset:76 ; 16-byte Folded Spill
	s_wait_dscnt 0x5
	v_mul_f64_e32 v[49:50], v[28:29], v[6:7]
	v_mul_f64_e32 v[51:52], v[30:31], v[6:7]
	s_wait_loadcnt_dscnt 0x303
	v_mul_f64_e32 v[53:54], v[34:35], v[14:15]
	v_mul_f64_e32 v[64:65], v[32:33], v[14:15]
	scratch_store_b128 off, v[12:15], off offset:108 ; 16-byte Folded Spill
	s_wait_loadcnt 0x2
	scratch_store_b128 off, v[8:11], off offset:92 ; 16-byte Folded Spill
	s_wait_loadcnt 0x1
	;; [unrolled: 2-line block ×3, first 2 shown]
	scratch_store_b128 off, v[20:23], off offset:140 ; 16-byte Folded Spill
	v_fma_f64 v[100:101], v[24:25], v[0:1], -v[45:46]
	v_fma_f64 v[102:103], v[26:27], v[0:1], v[47:48]
	global_load_b128 v[0:3], v44, s[2:3] offset:48
	v_fma_f64 v[48:49], v[30:31], v[4:5], v[49:50]
	v_fma_f64 v[50:51], v[28:29], v[4:5], -v[51:52]
	global_load_b128 v[4:7], v44, s[2:3] offset:128
	v_fma_f64 v[68:69], v[32:33], v[12:13], -v[53:54]
	s_wait_dscnt 0x2
	v_mul_f64_e32 v[32:33], v[38:39], v[18:19]
	s_wait_dscnt 0x1
	v_mul_f64_e32 v[28:29], v[40:41], v[10:11]
	v_fma_f64 v[70:71], v[34:35], v[12:13], v[64:65]
	v_mul_f64_e32 v[30:31], v[42:43], v[10:11]
	v_add_f64_e32 v[148:149], v[102:103], v[48:49]
	v_add_f64_e32 v[124:125], v[100:101], v[50:51]
	v_fma_f64 v[72:73], v[36:37], v[16:17], -v[32:33]
	s_wait_dscnt 0x0
	v_mul_f64_e32 v[32:33], v[56:57], v[22:23]
	v_fma_f64 v[52:53], v[42:43], v[8:9], v[28:29]
	v_mul_f64_e32 v[28:29], v[36:37], v[18:19]
	v_fma_f64 v[54:55], v[40:41], v[8:9], -v[30:31]
	s_delay_alu instid0(VALU_DEP_4) | instskip(SKIP_1) | instid1(VALU_DEP_4)
	v_fma_f64 v[64:65], v[58:59], v[20:21], v[32:33]
	v_mul_f64_e32 v[32:33], v[58:59], v[22:23]
	v_fma_f64 v[74:75], v[38:39], v[16:17], v[28:29]
	s_delay_alu instid0(VALU_DEP_2) | instskip(SKIP_3) | instid1(VALU_DEP_1)
	v_fma_f64 v[66:67], v[56:57], v[20:21], -v[32:33]
	ds_load_b128 v[32:35], v255 offset:9792
	ds_load_b128 v[36:39], v255 offset:12240
	v_add_f64_e64 v[192:193], v[72:73], -v[66:67]
	v_mul_f64_e32 v[194:195], s[20:21], v[192:193]
	s_wait_alu 0xfffe
	v_mul_f64_e32 v[232:233], s[40:41], v[192:193]
	s_wait_loadcnt_dscnt 0x101
	v_mul_f64_e32 v[40:41], v[32:33], v[2:3]
	scratch_store_b128 off, v[0:3], off offset:156 ; 16-byte Folded Spill
	v_fma_f64 v[80:81], v[34:35], v[0:1], v[40:41]
	v_mul_f64_e32 v[34:35], v[34:35], v[2:3]
	s_delay_alu instid0(VALU_DEP_1)
	v_fma_f64 v[82:83], v[32:33], v[0:1], -v[34:35]
	ds_load_b128 v[32:35], v255 offset:22032
	ds_load_b128 v[56:59], v255 offset:19584
	s_wait_loadcnt 0x0
	scratch_store_b128 off, v[4:7], off offset:172 ; 16-byte Folded Spill
	s_wait_dscnt 0x1
	v_mul_f64_e32 v[40:41], v[32:33], v[6:7]
	s_delay_alu instid0(VALU_DEP_1) | instskip(SKIP_1) | instid1(VALU_DEP_2)
	v_fma_f64 v[76:77], v[34:35], v[4:5], v[40:41]
	v_mul_f64_e32 v[34:35], v[34:35], v[6:7]
	v_add_f64_e64 v[196:197], v[80:81], -v[76:77]
	s_delay_alu instid0(VALU_DEP_2)
	v_fma_f64 v[78:79], v[32:33], v[4:5], -v[34:35]
	s_clause 0x1
	global_load_b128 v[4:7], v44, s[2:3] offset:64
	global_load_b128 v[0:3], v44, s[2:3] offset:80
	v_add_f64_e32 v[202:203], v[80:81], v[76:77]
	v_mul_f64_e32 v[198:199], s[36:37], v[196:197]
	v_add_f64_e64 v[200:201], v[82:83], -v[78:79]
	s_delay_alu instid0(VALU_DEP_1)
	v_mul_f64_e32 v[204:205], s[36:37], v[200:201]
	s_wait_loadcnt 0x1
	v_mul_f64_e32 v[45:46], v[38:39], v[6:7]
	scratch_store_b128 off, v[4:7], off offset:220 ; 16-byte Folded Spill
	v_fma_f64 v[84:85], v[36:37], v[4:5], -v[45:46]
	v_mul_f64_e32 v[36:37], v[36:37], v[6:7]
	s_delay_alu instid0(VALU_DEP_1)
	v_fma_f64 v[86:87], v[38:39], v[4:5], v[36:37]
	ds_load_b128 v[36:39], v255 offset:14688
	ds_load_b128 v[94:97], v255 offset:17136
	s_wait_loadcnt 0x0
	scratch_store_b128 off, v[0:3], off offset:188 ; 16-byte Folded Spill
	s_wait_dscnt 0x1
	v_mul_f64_e32 v[45:46], v[38:39], v[2:3]
	s_delay_alu instid0(VALU_DEP_1) | instskip(SKIP_1) | instid1(VALU_DEP_1)
	v_fma_f64 v[88:89], v[36:37], v[0:1], -v[45:46]
	v_mul_f64_e32 v[36:37], v[36:37], v[2:3]
	v_fma_f64 v[90:91], v[38:39], v[0:1], v[36:37]
	s_clause 0x1
	global_load_b128 v[0:3], v44, s[2:3] offset:96
	global_load_b128 v[4:7], v44, s[2:3] offset:112
	s_wait_loadcnt_dscnt 0x100
	v_mul_f64_e32 v[92:93], v[96:97], v[2:3]
	scratch_store_b128 off, v[0:3], off offset:204 ; 16-byte Folded Spill
	v_fma_f64 v[92:93], v[94:95], v[0:1], -v[92:93]
	v_mul_f64_e32 v[94:95], v[94:95], v[2:3]
	s_delay_alu instid0(VALU_DEP_2) | instskip(NEXT) | instid1(VALU_DEP_2)
	v_add_f64_e32 v[220:221], v[88:89], v[92:93]
	v_fma_f64 v[94:95], v[96:97], v[0:1], v[94:95]
	s_wait_loadcnt 0x0
	v_mul_f64_e32 v[96:97], v[58:59], v[6:7]
	v_add_f64_e32 v[0:1], v[134:135], v[100:101]
	v_add_f64_e64 v[224:225], v[88:89], -v[92:93]
	scratch_store_b128 off, v[4:7], off offset:236 ; 16-byte Folded Spill
	v_add_f64_e64 v[218:219], v[90:91], -v[94:95]
	v_fma_f64 v[96:97], v[56:57], v[4:5], -v[96:97]
	scratch_store_b64 off, v[0:1], off offset:44 ; 8-byte Folded Spill
	v_mul_f64_e32 v[56:57], v[56:57], v[6:7]
	v_add_f64_e32 v[226:227], v[90:91], v[94:95]
	v_mul_f64_e32 v[244:245], s[22:23], v[224:225]
	v_mul_f64_e32 v[242:243], s[22:23], v[218:219]
	v_add_f64_e32 v[208:209], v[84:85], v[96:97]
	v_add_f64_e64 v[212:213], v[84:85], -v[96:97]
	v_fma_f64 v[98:99], v[58:59], v[4:5], v[56:57]
	v_add_f64_e64 v[56:57], v[102:103], -v[48:49]
	v_add_f64_e32 v[102:103], v[136:137], v[102:103]
	v_mul_f64_e32 v[24:25], s[24:25], v[218:219]
	v_mul_f64_e32 v[44:45], s[38:39], v[218:219]
	;; [unrolled: 1-line block ×3, first 2 shown]
	v_add_f64_e64 v[206:207], v[86:87], -v[98:99]
	v_mul_f64_e32 v[58:59], s[34:35], v[56:57]
	v_mul_f64_e32 v[104:105], s[28:29], v[56:57]
	;; [unrolled: 1-line block ×6, first 2 shown]
	v_add_f64_e32 v[214:215], v[86:87], v[98:99]
	v_mul_f64_e32 v[240:241], s[28:29], v[212:213]
	v_fma_f64 v[26:27], v[220:221], s[14:15], -v[24:25]
	v_fma_f64 v[46:47], v[220:221], s[18:19], -v[44:45]
	v_mul_f64_e32 v[210:211], s[38:39], v[206:207]
	v_fma_f64 v[126:127], v[124:125], s[30:31], -v[58:59]
	v_fma_f64 v[58:59], v[124:125], s[30:31], v[58:59]
	v_fma_f64 v[130:131], v[124:125], s[16:17], -v[104:105]
	v_fma_f64 v[132:133], v[124:125], s[16:17], v[104:105]
	v_fma_f64 v[138:139], v[124:125], s[18:19], -v[106:107]
	v_fma_f64 v[150:151], v[124:125], s[0:1], -v[56:57]
	v_fma_f64 v[152:153], v[124:125], s[0:1], v[56:57]
	v_add_f64_e64 v[56:57], v[100:101], -v[50:51]
	v_fma_f64 v[140:141], v[124:125], s[18:19], v[106:107]
	v_fma_f64 v[142:143], v[124:125], s[14:15], -v[108:109]
	v_fma_f64 v[108:109], v[124:125], s[14:15], v[108:109]
	v_fma_f64 v[144:145], v[124:125], s[10:11], -v[110:111]
	v_fma_f64 v[146:147], v[124:125], s[10:11], v[110:111]
	v_mul_f64_e32 v[238:239], s[28:29], v[206:207]
	v_mul_f64_e32 v[40:41], s[24:25], v[206:207]
	v_add_f64_e32 v[180:181], v[134:135], v[130:131]
	v_add_f64_e32 v[132:133], v[134:135], v[132:133]
	;; [unrolled: 1-line block ×3, first 2 shown]
	v_mul_f64_e32 v[104:105], s[34:35], v[56:57]
	v_mul_f64_e32 v[106:107], s[28:29], v[56:57]
	;; [unrolled: 1-line block ×6, first 2 shown]
	v_add_f64_e32 v[188:189], v[134:135], v[142:143]
	v_add_f64_e32 v[168:169], v[134:135], v[144:145]
	v_add_f64_e64 v[142:143], v[68:69], -v[54:55]
	v_add_f64_e64 v[144:145], v[74:75], -v[64:65]
	s_mov_b32 s35, 0x3fddbe06
	v_fma_f64 v[42:43], v[208:209], s[14:15], -v[40:41]
	s_wait_alu 0xfffe
	v_mul_f64_e32 v[222:223], s[34:35], v[218:219]
	v_mul_f64_e32 v[228:229], s[34:35], v[224:225]
	;; [unrolled: 1-line block ×5, first 2 shown]
	v_fma_f64 v[154:155], v[148:149], s[30:31], v[104:105]
	v_fma_f64 v[156:157], v[148:149], s[30:31], -v[104:105]
	v_fma_f64 v[158:159], v[148:149], s[16:17], v[106:107]
	v_fma_f64 v[160:161], v[148:149], s[16:17], -v[106:107]
	;; [unrolled: 2-line block ×6, first 2 shown]
	v_add_f64_e32 v[148:149], v[134:135], v[146:147]
	v_add_f64_e32 v[128:129], v[134:135], v[126:127]
	;; [unrolled: 1-line block ×6, first 2 shown]
	v_mul_f64_e32 v[12:13], s[28:29], v[144:145]
	v_mul_f64_e32 v[10:11], s[38:39], v[142:143]
	v_fma_f64 v[22:23], v[208:209], s[30:31], -v[20:21]
	v_mul_f64_e32 v[32:33], s[22:23], v[144:145]
	v_mul_f64_e32 v[28:29], s[34:35], v[142:143]
	v_add_f64_e32 v[110:111], v[136:137], v[154:155]
	v_add_f64_e32 v[106:107], v[136:137], v[156:157]
	;; [unrolled: 1-line block ×12, first 2 shown]
	v_add_f64_e64 v[136:137], v[70:71], -v[52:53]
	v_add_f64_e32 v[160:161], v[134:135], v[150:151]
	v_add_f64_e32 v[156:157], v[134:135], v[152:153]
	v_mul_f64_e32 v[150:151], s[24:25], v[142:143]
	v_mul_f64_e32 v[152:153], s[20:21], v[144:145]
	;; [unrolled: 1-line block ×5, first 2 shown]
	s_delay_alu instid0(VALU_DEP_3) | instskip(NEXT) | instid1(VALU_DEP_1)
	v_fma_f64 v[138:139], v[108:109], s[14:15], -v[134:135]
	v_add_f64_e32 v[162:163], v[138:139], v[180:181]
	v_add_f64_e32 v[138:139], v[70:71], v[52:53]
	s_delay_alu instid0(VALU_DEP_1) | instskip(SKIP_2) | instid1(VALU_DEP_3)
	v_fma_f64 v[140:141], v[138:139], s[14:15], v[150:151]
	v_fma_f64 v[30:31], v[138:139], s[30:31], v[28:29]
	v_fma_f64 v[28:29], v[138:139], s[30:31], -v[28:29]
	v_add_f64_e32 v[164:165], v[140:141], v[182:183]
	v_add_f64_e32 v[140:141], v[72:73], v[66:67]
	s_delay_alu instid0(VALU_DEP_4) | instskip(NEXT) | instid1(VALU_DEP_4)
	v_add_f64_e32 v[30:31], v[30:31], v[158:159]
	v_add_f64_e32 v[28:29], v[28:29], v[154:155]
	s_delay_alu instid0(VALU_DEP_3) | instskip(SKIP_3) | instid1(VALU_DEP_4)
	v_fma_f64 v[172:173], v[140:141], s[0:1], -v[152:153]
	v_fma_f64 v[14:15], v[140:141], s[16:17], -v[12:13]
	v_fma_f64 v[12:13], v[140:141], s[16:17], v[12:13]
	v_fma_f64 v[34:35], v[140:141], s[10:11], -v[32:33]
	v_add_f64_e32 v[172:173], v[172:173], v[162:163]
	v_add_f64_e32 v[162:163], v[74:75], v[64:65]
	s_delay_alu instid0(VALU_DEP_1) | instskip(NEXT) | instid1(VALU_DEP_1)
	v_fma_f64 v[174:175], v[162:163], s[0:1], v[194:195]
	v_add_f64_e32 v[174:175], v[174:175], v[164:165]
	v_add_f64_e32 v[164:165], v[82:83], v[78:79]
	s_delay_alu instid0(VALU_DEP_1) | instskip(NEXT) | instid1(VALU_DEP_1)
	v_fma_f64 v[176:177], v[164:165], s[10:11], -v[198:199]
	v_add_f64_e32 v[172:173], v[176:177], v[172:173]
	v_fma_f64 v[176:177], v[202:203], s[10:11], v[204:205]
	s_delay_alu instid0(VALU_DEP_1) | instskip(SKIP_1) | instid1(VALU_DEP_1)
	v_add_f64_e32 v[174:175], v[176:177], v[174:175]
	v_fma_f64 v[176:177], v[208:209], s[18:19], -v[210:211]
	v_add_f64_e32 v[172:173], v[176:177], v[172:173]
	v_fma_f64 v[176:177], v[214:215], s[18:19], v[216:217]
	s_delay_alu instid0(VALU_DEP_1) | instskip(SKIP_1) | instid1(VALU_DEP_1)
	v_add_f64_e32 v[174:175], v[176:177], v[174:175]
	;; [unrolled: 5-line block ×3, first 2 shown]
	v_fma_f64 v[176:177], v[108:109], s[0:1], -v[230:231]
	v_add_f64_e32 v[176:177], v[176:177], v[184:185]
	v_mul_f64_e32 v[184:185], s[20:21], v[142:143]
	s_delay_alu instid0(VALU_DEP_1) | instskip(NEXT) | instid1(VALU_DEP_1)
	v_fma_f64 v[178:179], v[138:139], s[0:1], v[184:185]
	v_add_f64_e32 v[178:179], v[178:179], v[186:187]
	v_mul_f64_e32 v[186:187], s[40:41], v[144:145]
	s_mov_b32 s41, 0x3fea55e2
	s_mov_b32 s40, s28
	s_wait_alu 0xfffe
	v_mul_f64_e32 v[36:37], s[40:41], v[196:197]
	s_delay_alu instid0(VALU_DEP_2) | instskip(NEXT) | instid1(VALU_DEP_2)
	v_fma_f64 v[180:181], v[140:141], s[14:15], -v[186:187]
	v_fma_f64 v[38:39], v[164:165], s[16:17], -v[36:37]
	s_delay_alu instid0(VALU_DEP_2) | instskip(SKIP_1) | instid1(VALU_DEP_1)
	v_add_f64_e32 v[176:177], v[180:181], v[176:177]
	v_fma_f64 v[180:181], v[162:163], s[14:15], v[232:233]
	v_add_f64_e32 v[178:179], v[180:181], v[178:179]
	v_fma_f64 v[180:181], v[164:165], s[30:31], -v[234:235]
	s_delay_alu instid0(VALU_DEP_1) | instskip(SKIP_1) | instid1(VALU_DEP_1)
	v_add_f64_e32 v[176:177], v[180:181], v[176:177]
	v_fma_f64 v[180:181], v[202:203], s[30:31], v[236:237]
	v_add_f64_e32 v[178:179], v[180:181], v[178:179]
	v_fma_f64 v[180:181], v[208:209], s[16:17], -v[238:239]
	s_delay_alu instid0(VALU_DEP_1) | instskip(SKIP_1) | instid1(VALU_DEP_1)
	;; [unrolled: 5-line block ×3, first 2 shown]
	v_add_f64_e32 v[176:177], v[180:181], v[176:177]
	v_fma_f64 v[180:181], v[226:227], s[10:11], v[244:245]
	v_add_f64_e32 v[178:179], v[180:181], v[178:179]
	v_fma_f64 v[180:181], v[108:109], s[10:11], -v[246:247]
	s_delay_alu instid0(VALU_DEP_1)
	v_add_f64_e32 v[180:181], v[180:181], v[188:189]
	v_mul_f64_e32 v[188:189], s[36:37], v[142:143]
	s_mov_b32 s37, 0x3fcea1e5
	s_mov_b32 s36, s20
	s_wait_alu 0xfffe
	v_mul_f64_e32 v[4:5], s[36:37], v[212:213]
	v_mul_f64_e32 v[0:1], s[36:37], v[206:207]
	;; [unrolled: 1-line block ×3, first 2 shown]
	s_delay_alu instid0(VALU_DEP_4) | instskip(NEXT) | instid1(VALU_DEP_4)
	v_fma_f64 v[182:183], v[138:139], s[10:11], v[188:189]
	v_fma_f64 v[6:7], v[214:215], s[0:1], v[4:5]
	s_delay_alu instid0(VALU_DEP_4) | instskip(NEXT) | instid1(VALU_DEP_4)
	v_fma_f64 v[2:3], v[208:209], s[0:1], -v[0:1]
	v_fma_f64 v[18:19], v[164:165], s[0:1], -v[16:17]
	v_fma_f64 v[0:1], v[208:209], s[0:1], v[0:1]
	v_fma_f64 v[4:5], v[214:215], s[0:1], -v[4:5]
	v_add_f64_e32 v[182:183], v[182:183], v[190:191]
	v_mul_f64_e32 v[190:191], s[34:35], v[144:145]
	s_delay_alu instid0(VALU_DEP_1) | instskip(NEXT) | instid1(VALU_DEP_1)
	v_fma_f64 v[248:249], v[140:141], s[30:31], -v[190:191]
	v_add_f64_e32 v[180:181], v[248:249], v[180:181]
	v_mul_f64_e32 v[248:249], s[34:35], v[192:193]
	s_delay_alu instid0(VALU_DEP_1) | instskip(NEXT) | instid1(VALU_DEP_1)
	v_fma_f64 v[250:251], v[162:163], s[30:31], v[248:249]
	v_add_f64_e32 v[182:183], v[250:251], v[182:183]
	v_mul_f64_e32 v[250:251], s[26:27], v[196:197]
	s_delay_alu instid0(VALU_DEP_1) | instskip(NEXT) | instid1(VALU_DEP_1)
	v_fma_f64 v[252:253], v[164:165], s[18:19], -v[250:251]
	v_add_f64_e32 v[180:181], v[252:253], v[180:181]
	v_mul_f64_e32 v[252:253], s[26:27], v[200:201]
	s_delay_alu instid0(VALU_DEP_2) | instskip(NEXT) | instid1(VALU_DEP_2)
	v_add_f64_e32 v[2:3], v[2:3], v[180:181]
	v_fma_f64 v[170:171], v[202:203], s[18:19], v[252:253]
	s_delay_alu instid0(VALU_DEP_1) | instskip(NEXT) | instid1(VALU_DEP_1)
	v_add_f64_e32 v[170:171], v[170:171], v[182:183]
	v_add_f64_e32 v[6:7], v[6:7], v[170:171]
	v_mul_f64_e32 v[170:171], s[40:41], v[218:219]
	s_delay_alu instid0(VALU_DEP_1) | instskip(NEXT) | instid1(VALU_DEP_1)
	v_fma_f64 v[180:181], v[220:221], s[16:17], -v[170:171]
	v_add_f64_e32 v[180:181], v[180:181], v[2:3]
	v_mul_f64_e32 v[2:3], s[40:41], v[224:225]
	s_delay_alu instid0(VALU_DEP_1) | instskip(SKIP_1) | instid1(VALU_DEP_2)
	v_fma_f64 v[182:183], v[226:227], s[16:17], v[2:3]
	v_fma_f64 v[2:3], v[226:227], s[16:17], -v[2:3]
	v_add_f64_e32 v[182:183], v[182:183], v[6:7]
	v_mul_f64_e32 v[6:7], s[38:39], v[136:137]
	s_delay_alu instid0(VALU_DEP_1) | instskip(SKIP_1) | instid1(VALU_DEP_2)
	v_fma_f64 v[8:9], v[108:109], s[18:19], -v[6:7]
	v_fma_f64 v[6:7], v[108:109], s[18:19], v[6:7]
	v_add_f64_e32 v[8:9], v[8:9], v[168:169]
	v_fma_f64 v[168:169], v[138:139], s[18:19], v[10:11]
	s_delay_alu instid0(VALU_DEP_3) | instskip(SKIP_1) | instid1(VALU_DEP_4)
	v_add_f64_e32 v[6:7], v[6:7], v[148:149]
	v_fma_f64 v[10:11], v[138:139], s[18:19], -v[10:11]
	v_add_f64_e32 v[8:9], v[14:15], v[8:9]
	v_mul_f64_e32 v[14:15], s[28:29], v[192:193]
	s_delay_alu instid0(VALU_DEP_4) | instskip(NEXT) | instid1(VALU_DEP_4)
	v_add_f64_e32 v[6:7], v[12:13], v[6:7]
	v_add_f64_e32 v[10:11], v[10:11], v[146:147]
	;; [unrolled: 1-line block ×4, first 2 shown]
	v_fma_f64 v[12:13], v[162:163], s[16:17], -v[14:15]
	v_mul_f64_e32 v[18:19], s[36:37], v[200:201]
	v_fma_f64 v[168:169], v[162:163], s[16:17], v[14:15]
	s_delay_alu instid0(VALU_DEP_4) | instskip(NEXT) | instid1(VALU_DEP_4)
	v_add_f64_e32 v[8:9], v[22:23], v[8:9]
	v_add_f64_e32 v[10:11], v[12:13], v[10:11]
	v_fma_f64 v[12:13], v[164:165], s[0:1], v[16:17]
	s_delay_alu instid0(VALU_DEP_4) | instskip(SKIP_2) | instid1(VALU_DEP_4)
	v_add_f64_e32 v[166:167], v[168:169], v[166:167]
	v_fma_f64 v[168:169], v[202:203], s[0:1], v[18:19]
	v_mul_f64_e32 v[22:23], s[34:35], v[212:213]
	v_add_f64_e32 v[6:7], v[12:13], v[6:7]
	v_fma_f64 v[12:13], v[202:203], s[0:1], -v[18:19]
	s_delay_alu instid0(VALU_DEP_4) | instskip(NEXT) | instid1(VALU_DEP_4)
	v_add_f64_e32 v[166:167], v[168:169], v[166:167]
	v_fma_f64 v[168:169], v[214:215], s[30:31], v[22:23]
	s_delay_alu instid0(VALU_DEP_3) | instskip(SKIP_1) | instid1(VALU_DEP_3)
	v_add_f64_e32 v[10:11], v[12:13], v[10:11]
	v_fma_f64 v[12:13], v[208:209], s[30:31], v[20:21]
	v_add_f64_e32 v[168:169], v[168:169], v[166:167]
	v_add_f64_e32 v[166:167], v[26:27], v[8:9]
	v_mul_f64_e32 v[8:9], s[24:25], v[224:225]
	s_delay_alu instid0(VALU_DEP_4) | instskip(SKIP_2) | instid1(VALU_DEP_4)
	v_add_f64_e32 v[6:7], v[12:13], v[6:7]
	v_fma_f64 v[12:13], v[214:215], s[30:31], -v[22:23]
	v_mul_f64_e32 v[22:23], s[20:21], v[224:225]
	v_fma_f64 v[26:27], v[226:227], s[14:15], v[8:9]
	v_fma_f64 v[8:9], v[226:227], s[14:15], -v[8:9]
	s_delay_alu instid0(VALU_DEP_4) | instskip(SKIP_1) | instid1(VALU_DEP_4)
	v_add_f64_e32 v[10:11], v[12:13], v[10:11]
	v_fma_f64 v[12:13], v[220:221], s[14:15], v[24:25]
	v_add_f64_e32 v[168:169], v[26:27], v[168:169]
	v_mul_f64_e32 v[26:27], s[34:35], v[136:137]
	s_delay_alu instid0(VALU_DEP_4) | instskip(NEXT) | instid1(VALU_DEP_4)
	v_add_f64_e32 v[148:149], v[8:9], v[10:11]
	v_add_f64_e32 v[146:147], v[12:13], v[6:7]
	v_fma_f64 v[6:7], v[108:109], s[10:11], v[246:247]
	v_fma_f64 v[8:9], v[138:139], s[10:11], -v[188:189]
	v_fma_f64 v[10:11], v[140:141], s[30:31], v[190:191]
	v_fma_f64 v[100:101], v[108:109], s[30:31], -v[26:27]
	v_fma_f64 v[26:27], v[108:109], s[30:31], v[26:27]
	v_add_f64_e32 v[6:7], v[6:7], v[126:127]
	v_add_f64_e32 v[8:9], v[8:9], v[124:125]
	s_delay_alu instid0(VALU_DEP_4) | instskip(NEXT) | instid1(VALU_DEP_4)
	v_add_f64_e32 v[100:101], v[100:101], v[160:161]
	v_add_f64_e32 v[26:27], v[26:27], v[156:157]
	s_delay_alu instid0(VALU_DEP_4) | instskip(SKIP_1) | instid1(VALU_DEP_4)
	v_add_f64_e32 v[6:7], v[10:11], v[6:7]
	v_fma_f64 v[10:11], v[162:163], s[30:31], -v[248:249]
	v_add_f64_e32 v[34:35], v[34:35], v[100:101]
	v_mul_f64_e32 v[100:101], s[22:23], v[192:193]
	s_delay_alu instid0(VALU_DEP_3) | instskip(SKIP_1) | instid1(VALU_DEP_4)
	v_add_f64_e32 v[8:9], v[10:11], v[8:9]
	v_fma_f64 v[10:11], v[164:165], s[18:19], v[250:251]
	v_add_f64_e32 v[34:35], v[38:39], v[34:35]
	s_delay_alu instid0(VALU_DEP_4) | instskip(SKIP_1) | instid1(VALU_DEP_4)
	v_fma_f64 v[158:159], v[162:163], s[10:11], v[100:101]
	v_mul_f64_e32 v[38:39], s[40:41], v[200:201]
	v_add_f64_e32 v[6:7], v[10:11], v[6:7]
	v_fma_f64 v[10:11], v[202:203], s[18:19], -v[252:253]
	s_delay_alu instid0(VALU_DEP_4) | instskip(NEXT) | instid1(VALU_DEP_4)
	v_add_f64_e32 v[30:31], v[158:159], v[30:31]
	v_fma_f64 v[158:159], v[202:203], s[16:17], v[38:39]
	v_add_f64_e32 v[34:35], v[42:43], v[34:35]
	v_mul_f64_e32 v[42:43], s[24:25], v[212:213]
	v_add_f64_e32 v[0:1], v[0:1], v[6:7]
	v_add_f64_e32 v[8:9], v[10:11], v[8:9]
	v_fma_f64 v[6:7], v[220:221], s[16:17], v[170:171]
	v_add_f64_e32 v[30:31], v[158:159], v[30:31]
	v_fma_f64 v[158:159], v[214:215], s[14:15], v[42:43]
	s_delay_alu instid0(VALU_DEP_4) | instskip(NEXT) | instid1(VALU_DEP_4)
	v_add_f64_e32 v[4:5], v[4:5], v[8:9]
	v_add_f64_e32 v[124:125], v[6:7], v[0:1]
	v_fma_f64 v[0:1], v[108:109], s[0:1], v[230:231]
	v_fma_f64 v[6:7], v[226:227], s[10:11], -v[244:245]
	v_mul_f64_e32 v[8:9], s[26:27], v[144:145]
	v_add_f64_e32 v[30:31], v[158:159], v[30:31]
	v_add_f64_e32 v[158:159], v[46:47], v[34:35]
	v_mul_f64_e32 v[34:35], s[38:39], v[224:225]
	v_add_f64_e32 v[126:127], v[2:3], v[4:5]
	v_fma_f64 v[2:3], v[138:139], s[0:1], -v[184:185]
	v_add_f64_e32 v[0:1], v[0:1], v[58:59]
	v_fma_f64 v[4:5], v[140:141], s[14:15], v[186:187]
	v_fma_f64 v[10:11], v[140:141], s[18:19], -v[8:9]
	v_fma_f64 v[46:47], v[226:227], s[18:19], v[34:35]
	v_add_f64_e32 v[2:3], v[2:3], v[56:57]
	s_delay_alu instid0(VALU_DEP_4) | instskip(SKIP_1) | instid1(VALU_DEP_4)
	v_add_f64_e32 v[0:1], v[4:5], v[0:1]
	v_fma_f64 v[4:5], v[162:163], s[14:15], -v[232:233]
	v_add_f64_e32 v[160:161], v[46:47], v[30:31]
	v_fma_f64 v[30:31], v[140:141], s[10:11], v[32:33]
	v_fma_f64 v[32:33], v[226:227], s[18:19], -v[34:35]
	s_delay_alu instid0(VALU_DEP_4) | instskip(SKIP_1) | instid1(VALU_DEP_4)
	v_add_f64_e32 v[2:3], v[4:5], v[2:3]
	v_fma_f64 v[4:5], v[164:165], s[30:31], v[234:235]
	v_add_f64_e32 v[26:27], v[30:31], v[26:27]
	v_fma_f64 v[30:31], v[162:163], s[10:11], -v[100:101]
	s_delay_alu instid0(VALU_DEP_3) | instskip(SKIP_1) | instid1(VALU_DEP_3)
	v_add_f64_e32 v[0:1], v[4:5], v[0:1]
	v_fma_f64 v[4:5], v[202:203], s[30:31], -v[236:237]
	v_add_f64_e32 v[28:29], v[30:31], v[28:29]
	v_fma_f64 v[30:31], v[164:165], s[16:17], v[36:37]
	s_delay_alu instid0(VALU_DEP_3) | instskip(SKIP_1) | instid1(VALU_DEP_3)
	v_add_f64_e32 v[2:3], v[4:5], v[2:3]
	v_fma_f64 v[4:5], v[208:209], s[16:17], v[238:239]
	v_add_f64_e32 v[26:27], v[30:31], v[26:27]
	v_fma_f64 v[30:31], v[202:203], s[16:17], -v[38:39]
	s_delay_alu instid0(VALU_DEP_3) | instskip(SKIP_1) | instid1(VALU_DEP_3)
	v_add_f64_e32 v[0:1], v[4:5], v[0:1]
	v_fma_f64 v[4:5], v[214:215], s[16:17], -v[240:241]
	v_add_f64_e32 v[28:29], v[30:31], v[28:29]
	v_fma_f64 v[30:31], v[208:209], s[14:15], v[40:41]
	s_delay_alu instid0(VALU_DEP_3) | instskip(SKIP_1) | instid1(VALU_DEP_3)
	v_add_f64_e32 v[2:3], v[4:5], v[2:3]
	v_fma_f64 v[4:5], v[220:221], s[10:11], v[242:243]
	v_add_f64_e32 v[26:27], v[30:31], v[26:27]
	v_fma_f64 v[30:31], v[214:215], s[14:15], -v[42:43]
	s_delay_alu instid0(VALU_DEP_4) | instskip(NEXT) | instid1(VALU_DEP_4)
	v_add_f64_e32 v[58:59], v[6:7], v[2:3]
	v_add_f64_e32 v[56:57], v[4:5], v[0:1]
	v_fma_f64 v[0:1], v[108:109], s[14:15], v[134:135]
	v_fma_f64 v[2:3], v[138:139], s[14:15], -v[150:151]
	v_fma_f64 v[4:5], v[140:141], s[0:1], v[152:153]
	v_fma_f64 v[6:7], v[226:227], s[30:31], -v[228:229]
	v_add_f64_e32 v[28:29], v[30:31], v[28:29]
	v_fma_f64 v[30:31], v[220:221], s[18:19], v[44:45]
	v_add_f64_e32 v[0:1], v[0:1], v[132:133]
	v_add_f64_e32 v[2:3], v[2:3], v[130:131]
	s_delay_alu instid0(VALU_DEP_4) | instskip(NEXT) | instid1(VALU_DEP_4)
	v_add_f64_e32 v[156:157], v[32:33], v[28:29]
	v_add_f64_e32 v[154:155], v[30:31], v[26:27]
	s_delay_alu instid0(VALU_DEP_4) | instskip(SKIP_1) | instid1(VALU_DEP_1)
	v_add_f64_e32 v[0:1], v[4:5], v[0:1]
	v_fma_f64 v[4:5], v[162:163], s[0:1], -v[194:195]
	v_add_f64_e32 v[2:3], v[4:5], v[2:3]
	v_fma_f64 v[4:5], v[164:165], s[10:11], v[198:199]
	s_delay_alu instid0(VALU_DEP_1) | instskip(SKIP_1) | instid1(VALU_DEP_1)
	v_add_f64_e32 v[0:1], v[4:5], v[0:1]
	v_fma_f64 v[4:5], v[202:203], s[10:11], -v[204:205]
	v_add_f64_e32 v[2:3], v[4:5], v[2:3]
	v_fma_f64 v[4:5], v[208:209], s[18:19], v[210:211]
	s_delay_alu instid0(VALU_DEP_1) | instskip(SKIP_1) | instid1(VALU_DEP_1)
	v_add_f64_e32 v[0:1], v[4:5], v[0:1]
	v_fma_f64 v[4:5], v[214:215], s[18:19], -v[216:217]
	v_add_f64_e32 v[2:3], v[4:5], v[2:3]
	v_fma_f64 v[4:5], v[220:221], s[30:31], v[222:223]
	s_delay_alu instid0(VALU_DEP_2) | instskip(NEXT) | instid1(VALU_DEP_2)
	v_add_f64_e32 v[134:135], v[6:7], v[2:3]
	v_add_f64_e32 v[132:133], v[4:5], v[0:1]
	v_mul_f64_e32 v[0:1], s[28:29], v[136:137]
	v_mul_f64_e32 v[4:5], s[28:29], v[142:143]
	s_delay_alu instid0(VALU_DEP_2) | instskip(NEXT) | instid1(VALU_DEP_2)
	v_fma_f64 v[2:3], v[108:109], s[16:17], -v[0:1]
	v_fma_f64 v[6:7], v[138:139], s[16:17], v[4:5]
	v_fma_f64 v[0:1], v[108:109], s[16:17], v[0:1]
	s_delay_alu instid0(VALU_DEP_3) | instskip(NEXT) | instid1(VALU_DEP_3)
	v_add_f64_e32 v[2:3], v[2:3], v[128:129]
	v_add_f64_e32 v[6:7], v[6:7], v[110:111]
	s_delay_alu instid0(VALU_DEP_3) | instskip(NEXT) | instid1(VALU_DEP_3)
	v_add_f64_e32 v[0:1], v[0:1], v[104:105]
	v_add_f64_e32 v[2:3], v[10:11], v[2:3]
	v_mul_f64_e32 v[10:11], s[26:27], v[192:193]
	s_delay_alu instid0(VALU_DEP_1) | instskip(NEXT) | instid1(VALU_DEP_1)
	v_fma_f64 v[12:13], v[162:163], s[18:19], v[10:11]
	v_add_f64_e32 v[6:7], v[12:13], v[6:7]
	v_mul_f64_e32 v[12:13], s[24:25], v[196:197]
	s_delay_alu instid0(VALU_DEP_1) | instskip(NEXT) | instid1(VALU_DEP_1)
	v_fma_f64 v[14:15], v[164:165], s[14:15], -v[12:13]
	v_add_f64_e32 v[2:3], v[14:15], v[2:3]
	v_mul_f64_e32 v[14:15], s[24:25], v[200:201]
	s_delay_alu instid0(VALU_DEP_1) | instskip(NEXT) | instid1(VALU_DEP_1)
	v_fma_f64 v[16:17], v[202:203], s[14:15], v[14:15]
	v_add_f64_e32 v[6:7], v[16:17], v[6:7]
	v_mul_f64_e32 v[16:17], s[22:23], v[206:207]
	s_delay_alu instid0(VALU_DEP_1) | instskip(NEXT) | instid1(VALU_DEP_1)
	v_fma_f64 v[18:19], v[208:209], s[10:11], -v[16:17]
	v_add_f64_e32 v[2:3], v[18:19], v[2:3]
	v_mul_f64_e32 v[18:19], s[22:23], v[212:213]
	s_delay_alu instid0(VALU_DEP_1) | instskip(NEXT) | instid1(VALU_DEP_1)
	v_fma_f64 v[20:21], v[214:215], s[10:11], v[18:19]
	v_add_f64_e32 v[6:7], v[20:21], v[6:7]
	v_mul_f64_e32 v[20:21], s[20:21], v[218:219]
	s_delay_alu instid0(VALU_DEP_1) | instskip(NEXT) | instid1(VALU_DEP_1)
	v_fma_f64 v[24:25], v[220:221], s[0:1], -v[20:21]
	v_add_f64_e32 v[128:129], v[24:25], v[2:3]
	v_fma_f64 v[2:3], v[226:227], s[0:1], v[22:23]
	s_delay_alu instid0(VALU_DEP_1) | instskip(SKIP_2) | instid1(VALU_DEP_1)
	v_add_f64_e32 v[130:131], v[2:3], v[6:7]
	scratch_load_b64 v[2:3], off, off offset:44 th:TH_LOAD_LU ; 8-byte Folded Reload
	v_add_f64_e32 v[6:7], v[102:103], v[70:71]
	v_add_f64_e32 v[6:7], v[6:7], v[74:75]
	s_delay_alu instid0(VALU_DEP_1) | instskip(NEXT) | instid1(VALU_DEP_1)
	v_add_f64_e32 v[6:7], v[6:7], v[80:81]
	v_add_f64_e32 v[6:7], v[6:7], v[86:87]
	s_delay_alu instid0(VALU_DEP_1) | instskip(NEXT) | instid1(VALU_DEP_1)
	;; [unrolled: 3-line block ×3, first 2 shown]
	v_add_f64_e32 v[6:7], v[6:7], v[98:99]
	v_add_f64_e32 v[6:7], v[6:7], v[76:77]
	s_delay_alu instid0(VALU_DEP_1) | instskip(SKIP_2) | instid1(VALU_DEP_2)
	v_add_f64_e32 v[6:7], v[6:7], v[64:65]
	s_wait_loadcnt 0x0
	v_add_f64_e32 v[2:3], v[2:3], v[68:69]
	v_add_f64_e32 v[6:7], v[6:7], v[52:53]
	s_delay_alu instid0(VALU_DEP_2) | instskip(NEXT) | instid1(VALU_DEP_2)
	v_add_f64_e32 v[2:3], v[2:3], v[72:73]
	v_add_f64_e32 v[52:53], v[6:7], v[48:49]
	v_fma_f64 v[6:7], v[162:163], s[18:19], -v[10:11]
	v_fma_f64 v[10:11], v[202:203], s[14:15], -v[14:15]
	s_delay_alu instid0(VALU_DEP_4) | instskip(NEXT) | instid1(VALU_DEP_1)
	v_add_f64_e32 v[2:3], v[2:3], v[82:83]
	v_add_f64_e32 v[2:3], v[2:3], v[84:85]
                                        ; implicit-def: $vgpr84_vgpr85
	s_delay_alu instid0(VALU_DEP_1) | instskip(NEXT) | instid1(VALU_DEP_1)
	v_add_f64_e32 v[2:3], v[2:3], v[88:89]
	v_add_f64_e32 v[2:3], v[2:3], v[92:93]
	s_delay_alu instid0(VALU_DEP_1) | instskip(NEXT) | instid1(VALU_DEP_1)
	v_add_f64_e32 v[2:3], v[2:3], v[96:97]
	v_add_f64_e32 v[2:3], v[2:3], v[78:79]
	;; [unrolled: 3-line block ×3, first 2 shown]
	s_delay_alu instid0(VALU_DEP_1) | instskip(SKIP_3) | instid1(VALU_DEP_3)
	v_add_f64_e32 v[50:51], v[2:3], v[50:51]
	v_fma_f64 v[2:3], v[138:139], s[16:17], -v[4:5]
	v_fma_f64 v[4:5], v[140:141], s[18:19], v[8:9]
	v_fma_f64 v[8:9], v[164:165], s[14:15], v[12:13]
	v_add_f64_e32 v[2:3], v[2:3], v[106:107]
	s_delay_alu instid0(VALU_DEP_3) | instskip(SKIP_1) | instid1(VALU_DEP_3)
	v_add_f64_e32 v[0:1], v[4:5], v[0:1]
	v_fma_f64 v[4:5], v[208:209], s[10:11], v[16:17]
	v_add_f64_e32 v[2:3], v[6:7], v[2:3]
	s_delay_alu instid0(VALU_DEP_3) | instskip(SKIP_2) | instid1(VALU_DEP_4)
	v_add_f64_e32 v[0:1], v[8:9], v[0:1]
	v_fma_f64 v[8:9], v[220:221], s[0:1], v[20:21]
	v_fma_f64 v[6:7], v[214:215], s[10:11], -v[18:19]
	v_add_f64_e32 v[2:3], v[10:11], v[2:3]
	s_delay_alu instid0(VALU_DEP_4) | instskip(SKIP_2) | instid1(VALU_DEP_4)
	v_add_f64_e32 v[0:1], v[4:5], v[0:1]
	v_fma_f64 v[10:11], v[226:227], s[0:1], -v[22:23]
	v_cmp_gt_u16_e64 s0, 0x44, v254
	v_add_f64_e32 v[2:3], v[6:7], v[2:3]
	s_delay_alu instid0(VALU_DEP_4)
	v_add_f64_e32 v[136:137], v[8:9], v[0:1]
	s_clause 0x1
	scratch_load_b32 v0, off, off offset:12 th:TH_LOAD_LU
	scratch_load_b32 v1, off, off offset:28 th:TH_LOAD_LU
	global_wb scope:SCOPE_SE
	s_wait_loadcnt 0x0
	s_wait_storecnt 0x0
	s_barrier_signal -1
	s_barrier_wait -1
	global_inv scope:SCOPE_SE
	v_add_f64_e32 v[138:139], v[10:11], v[2:3]
	v_and_b32_e32 v0, 0xffff, v0
	s_delay_alu instid0(VALU_DEP_1) | instskip(NEXT) | instid1(VALU_DEP_1)
	v_mul_u32_u24_e32 v0, 0xdd, v0
	v_add_lshl_u32 v204, v0, v1, 4
	ds_store_b128 v204, v[172:175] offset:544
	ds_store_b128 v204, v[176:179] offset:816
	;; [unrolled: 1-line block ×7, first 2 shown]
	ds_store_b128 v204, v[50:53]
	ds_store_b128 v204, v[146:149] offset:2176
	ds_store_b128 v204, v[124:127] offset:2448
	;; [unrolled: 1-line block ×5, first 2 shown]
	global_wb scope:SCOPE_SE
	s_wait_dscnt 0x0
	s_barrier_signal -1
	s_barrier_wait -1
	global_inv scope:SCOPE_SE
	ds_load_b128 v[128:131], v255
	ds_load_b128 v[92:95], v255 offset:3536
	ds_load_b128 v[68:71], v255 offset:7072
	;; [unrolled: 1-line block ×8, first 2 shown]
	s_and_saveexec_b32 s1, s0
	s_cbranch_execz .LBB0_9
; %bb.8:
	ds_load_b128 v[124:127], v255 offset:2448
	ds_load_b128 v[56:59], v255 offset:5984
	;; [unrolled: 1-line block ×9, first 2 shown]
.LBB0_9:
	s_wait_alu 0xfffe
	s_or_b32 exec_lo, exec_lo, s1
	scratch_load_b32 v30, off, off          ; 4-byte Folded Reload
	s_mov_b32 s20, 0x7e0b738b
	s_mov_b32 s21, 0x3fc63a1a
	;; [unrolled: 1-line block ×7, first 2 shown]
	s_wait_alu 0xfffe
	s_mov_b32 s16, s10
	s_mov_b32 s19, 0xbfebb67a
	s_wait_loadcnt 0x0
	v_lshlrev_b32_e32 v10, 7, v30
	v_add_co_u32 v28, s1, 0x99, v30
	s_wait_alu 0xf1ff
	v_add_co_ci_u32_e64 v29, null, 0, 0, s1
	s_clause 0x1
	global_load_b128 v[4:7], v10, s[2:3] offset:3264
	global_load_b128 v[16:19], v10, s[2:3] offset:3280
	v_add_co_u32 v30, s1, 0xffffffbc, v30
	s_delay_alu instid0(VALU_DEP_1)
	v_cndmask_b32_e64 v28, v30, v28, s0
	s_wait_loadcnt 0x1
	scratch_store_b128 off, v[4:7], off offset:252 ; 16-byte Folded Spill
	s_clause 0x1
	global_load_b128 v[11:14], v10, s[2:3] offset:3376
	global_load_b128 v[20:23], v10, s[2:3] offset:3360
	s_wait_dscnt 0x7
	v_mul_f64_e32 v[0:1], v[94:95], v[6:7]
	v_mul_f64_e32 v[2:3], v[92:93], v[6:7]
	s_delay_alu instid0(VALU_DEP_2) | instskip(NEXT) | instid1(VALU_DEP_2)
	v_fma_f64 v[0:1], v[92:93], v[4:5], -v[0:1]
	v_fma_f64 v[2:3], v[94:95], v[4:5], v[2:3]
	s_wait_loadcnt_dscnt 0x100
	v_mul_f64_e32 v[4:5], v[82:83], v[13:14]
	v_mul_f64_e32 v[6:7], v[80:81], v[13:14]
	scratch_store_b128 off, v[11:14], off offset:316 ; 16-byte Folded Spill
	v_fma_f64 v[4:5], v[80:81], v[11:12], -v[4:5]
	v_fma_f64 v[6:7], v[82:83], v[11:12], v[6:7]
	s_clause 0x1
	global_load_b128 v[11:14], v10, s[2:3] offset:3312
	global_load_b128 v[24:27], v10, s[2:3] offset:3296
	s_wait_loadcnt 0x1
	v_mul_f64_e32 v[8:9], v[106:107], v[13:14]
	scratch_store_b128 off, v[11:14], off offset:332 ; 16-byte Folded Spill
	v_fma_f64 v[142:143], v[104:105], v[11:12], -v[8:9]
	v_mul_f64_e32 v[8:9], v[104:105], v[13:14]
	s_delay_alu instid0(VALU_DEP_1)
	v_fma_f64 v[140:141], v[106:107], v[11:12], v[8:9]
	s_clause 0x1
	global_load_b128 v[12:15], v10, s[2:3] offset:3328
	global_load_b128 v[31:34], v10, s[2:3] offset:3344
	scratch_store_b128 off, v[16:19], off offset:284 ; 16-byte Folded Spill
	s_wait_loadcnt 0x2
	s_clause 0x1
	scratch_store_b128 off, v[24:27], off offset:268
	scratch_store_b128 off, v[20:23], off offset:300
	s_wait_loadcnt 0x1
	v_mul_f64_e32 v[8:9], v[78:79], v[14:15]
	v_mul_f64_e32 v[10:11], v[76:77], v[14:15]
	scratch_store_b128 off, v[12:15], off offset:348 ; 16-byte Folded Spill
	v_mul_f64_e32 v[14:15], v[68:69], v[18:19]
	s_wait_loadcnt 0x0
	scratch_store_b128 off, v[31:34], off offset:364 ; 16-byte Folded Spill
	v_fma_f64 v[8:9], v[76:77], v[12:13], -v[8:9]
	v_fma_f64 v[10:11], v[78:79], v[12:13], v[10:11]
	v_mul_f64_e32 v[12:13], v[70:71], v[18:19]
	v_fma_f64 v[14:15], v[70:71], v[16:17], v[14:15]
	v_mul_f64_e32 v[18:19], v[72:73], v[22:23]
	s_delay_alu instid0(VALU_DEP_3) | instskip(SKIP_1) | instid1(VALU_DEP_3)
	v_fma_f64 v[12:13], v[68:69], v[16:17], -v[12:13]
	v_mul_f64_e32 v[16:17], v[74:75], v[22:23]
	v_fma_f64 v[18:19], v[74:75], v[20:21], v[18:19]
	v_mul_f64_e32 v[22:23], v[64:65], v[26:27]
	s_delay_alu instid0(VALU_DEP_3) | instskip(SKIP_1) | instid1(VALU_DEP_3)
	v_fma_f64 v[16:17], v[72:73], v[20:21], -v[16:17]
	;; [unrolled: 5-line block ×3, first 2 shown]
	v_mul_f64_e32 v[24:25], v[54:55], v[33:34]
	v_fma_f64 v[26:27], v[54:55], v[31:32], v[26:27]
	s_delay_alu instid0(VALU_DEP_2) | instskip(SKIP_2) | instid1(VALU_DEP_1)
	v_fma_f64 v[24:25], v[52:53], v[31:32], -v[24:25]
	s_wait_alu 0xf1ff
	v_add_co_ci_u32_e64 v31, null, 0, -1, s1
	v_cndmask_b32_e64 v29, v31, v29, s0
	s_delay_alu instid0(VALU_DEP_1) | instskip(NEXT) | instid1(VALU_DEP_1)
	v_lshlrev_b64_e32 v[28:29], 7, v[28:29]
	v_add_co_u32 v28, s1, s2, v28
	s_wait_alu 0xf1ff
	s_delay_alu instid0(VALU_DEP_2)
	v_add_co_ci_u32_e64 v29, s1, s3, v29, s1
	s_clause 0x1
	global_load_b128 v[34:37], v[28:29], off offset:3264
	global_load_b128 v[52:55], v[28:29], off offset:3280
	s_mov_b32 s2, 0xa2cf5039
	s_mov_b32 s3, 0x3fe8836f
	s_wait_loadcnt 0x1
	v_mul_f64_e32 v[30:31], v[58:59], v[36:37]
	v_mul_f64_e32 v[32:33], v[56:57], v[36:37]
	scratch_store_b128 off, v[34:37], off offset:380 ; 16-byte Folded Spill
	v_fma_f64 v[30:31], v[56:57], v[34:35], -v[30:31]
	v_fma_f64 v[32:33], v[58:59], v[34:35], v[32:33]
	s_clause 0x1
	global_load_b128 v[38:41], v[28:29], off offset:3376
	global_load_b128 v[56:59], v[28:29], off offset:3360
	s_wait_loadcnt 0x1
	scratch_store_b128 off, v[38:41], off offset:428 ; 16-byte Folded Spill
	s_clause 0x1
	global_load_b128 v[42:45], v[28:29], off offset:3312
	global_load_b128 v[48:51], v[28:29], off offset:3296
	v_mul_f64_e32 v[34:35], v[86:87], v[40:41]
	v_mul_f64_e32 v[36:37], v[84:85], v[40:41]
	s_delay_alu instid0(VALU_DEP_2) | instskip(NEXT) | instid1(VALU_DEP_2)
	v_fma_f64 v[34:35], v[84:85], v[38:39], -v[34:35]
	v_fma_f64 v[36:37], v[86:87], v[38:39], v[36:37]
	s_wait_loadcnt 0x1
	v_mul_f64_e32 v[38:39], v[62:63], v[44:45]
	v_mul_f64_e32 v[40:41], v[60:61], v[44:45]
	scratch_store_b128 off, v[42:45], off offset:476 ; 16-byte Folded Spill
	v_fma_f64 v[38:39], v[60:61], v[42:43], -v[38:39]
	v_fma_f64 v[40:41], v[62:63], v[42:43], v[40:41]
	s_clause 0x1
	global_load_b128 v[44:47], v[28:29], off offset:3328
	global_load_b128 v[60:63], v[28:29], off offset:3344
	s_clause 0x1
	scratch_store_b128 off, v[52:55], off offset:444
	scratch_store_b128 off, v[56:59], off offset:460
	s_wait_loadcnt 0x1
	v_mul_f64_e32 v[28:29], v[122:123], v[46:47]
	s_wait_loadcnt 0x0
	scratch_store_b128 off, v[60:63], off offset:412 ; 16-byte Folded Spill
	v_mul_f64_e32 v[42:43], v[120:121], v[46:47]
	scratch_store_b128 off, v[44:47], off offset:492 ; 16-byte Folded Spill
	v_mul_f64_e32 v[46:47], v[132:133], v[54:55]
	v_fma_f64 v[28:29], v[120:121], v[44:45], -v[28:29]
	v_add_f64_e64 v[120:121], v[142:143], -v[8:9]
	v_fma_f64 v[42:43], v[122:123], v[44:45], v[42:43]
	v_mul_f64_e32 v[44:45], v[134:135], v[54:55]
	v_fma_f64 v[46:47], v[134:135], v[52:53], v[46:47]
	v_mul_f64_e32 v[54:55], v[112:113], v[58:59]
	v_add_f64_e32 v[122:123], v[142:143], v[8:9]
	v_add_f64_e64 v[146:147], v[38:39], -v[28:29]
	s_wait_alu 0xfffe
	v_mul_f64_e32 v[170:171], s[16:17], v[120:121]
	v_add_f64_e32 v[158:159], v[40:41], v[42:43]
	v_fma_f64 v[44:45], v[132:133], v[52:53], -v[44:45]
	v_mul_f64_e32 v[52:53], v[114:115], v[58:59]
	v_fma_f64 v[54:55], v[114:115], v[56:57], v[54:55]
	v_mul_f64_e32 v[114:115], v[116:117], v[62:63]
	v_mul_f64_e32 v[58:59], v[136:137], v[50:51]
	;; [unrolled: 1-line block ×3, first 2 shown]
	v_fma_f64 v[162:163], v[158:159], s[2:3], v[126:127]
	v_fma_f64 v[52:53], v[112:113], v[56:57], -v[52:53]
	v_mul_f64_e32 v[112:113], v[118:119], v[62:63]
	v_fma_f64 v[114:115], v[118:119], v[60:61], v[114:115]
	v_mul_f64_e32 v[56:57], v[138:139], v[50:51]
	v_fma_f64 v[58:59], v[138:139], v[48:49], v[58:59]
	v_add_f64_e32 v[138:139], v[140:141], v[10:11]
	v_add_f64_e32 v[156:157], v[46:47], v[54:55]
	v_fma_f64 v[112:113], v[116:117], v[60:61], -v[112:113]
	v_add_f64_e64 v[116:117], v[0:1], -v[4:5]
	v_add_f64_e32 v[0:1], v[0:1], v[4:5]
	v_add_f64_e64 v[4:5], v[2:3], -v[6:7]
	v_add_f64_e32 v[2:3], v[2:3], v[6:7]
	v_add_f64_e32 v[6:7], v[12:13], v[16:17]
	v_add_f64_e64 v[12:13], v[12:13], -v[16:17]
	v_add_f64_e32 v[16:17], v[14:15], v[18:19]
	v_add_f64_e64 v[14:15], v[14:15], -v[18:19]
	;; [unrolled: 2-line block ×4, first 2 shown]
	v_add_f64_e64 v[26:27], v[30:31], -v[34:35]
	v_add_f64_e32 v[30:31], v[30:31], v[34:35]
	v_add_f64_e64 v[34:35], v[32:33], -v[36:37]
	v_add_f64_e32 v[32:33], v[32:33], v[36:37]
	v_fma_f64 v[56:57], v[136:137], v[48:49], -v[56:57]
	v_add_f64_e64 v[136:137], v[140:141], -v[10:11]
	v_add_f64_e32 v[152:153], v[58:59], v[114:115]
	v_fma_f64 v[166:167], v[156:157], s[2:3], v[126:127]
	v_mul_f64_e32 v[168:169], s[10:11], v[116:117]
	v_fma_f64 v[170:171], v[116:117], s[14:15], v[170:171]
	v_add_f64_e32 v[36:37], v[6:7], v[0:1]
	v_fma_f64 v[172:173], v[12:13], s[16:17], -v[172:173]
	v_add_f64_e32 v[154:155], v[156:157], v[32:33]
	v_fma_f64 v[162:163], v[32:33], s[20:21], v[162:163]
	v_mul_f64_e32 v[174:175], s[16:17], v[136:137]
	v_mul_f64_e32 v[176:177], s[14:15], v[136:137]
	v_fma_f64 v[168:169], v[12:13], s[14:15], v[168:169]
	v_add_f64_e32 v[118:119], v[18:19], v[36:37]
	v_add_f64_e32 v[36:37], v[122:123], v[36:37]
	v_fma_f64 v[162:163], v[152:153], -0.5, v[162:163]
	v_fma_f64 v[174:175], v[4:5], s[14:15], v[174:175]
	v_fma_f64 v[176:177], v[14:15], s[16:17], -v[176:177]
	v_add_f64_e32 v[118:119], v[142:143], v[118:119]
	v_add_f64_e32 v[142:143], v[56:57], v[112:113]
	s_delay_alu instid0(VALU_DEP_2) | instskip(SKIP_1) | instid1(VALU_DEP_1)
	v_add_f64_e32 v[8:9], v[8:9], v[118:119]
	v_add_f64_e32 v[118:119], v[16:17], v[2:3]
	;; [unrolled: 1-line block ×3, first 2 shown]
	s_delay_alu instid0(VALU_DEP_1) | instskip(SKIP_1) | instid1(VALU_DEP_2)
	v_add_f64_e32 v[132:133], v[140:141], v[132:133]
	v_add_f64_e32 v[140:141], v[44:45], v[52:53]
	;; [unrolled: 1-line block ×3, first 2 shown]
	s_delay_alu instid0(VALU_DEP_2) | instskip(SKIP_1) | instid1(VALU_DEP_3)
	v_add_f64_e32 v[144:145], v[140:141], v[30:31]
	v_fma_f64 v[164:165], v[140:141], s[2:3], v[124:125]
	v_add_f64_e32 v[134:135], v[130:131], v[10:11]
	s_delay_alu instid0(VALU_DEP_3) | instskip(SKIP_1) | instid1(VALU_DEP_2)
	v_add_f64_e32 v[132:133], v[142:143], v[144:145]
	v_fma_f64 v[10:11], v[2:3], s[2:3], v[130:131]
	v_add_f64_e32 v[132:133], v[38:39], v[132:133]
	v_add_f64_e32 v[38:39], v[38:39], v[28:29]
	s_delay_alu instid0(VALU_DEP_3) | instskip(NEXT) | instid1(VALU_DEP_3)
	v_fma_f64 v[10:11], v[16:17], s[20:21], v[10:11]
	v_add_f64_e32 v[28:29], v[28:29], v[132:133]
	v_add_f64_e32 v[132:133], v[152:153], v[154:155]
	s_delay_alu instid0(VALU_DEP_3)
	v_fma_f64 v[10:11], v[24:25], -0.5, v[10:11]
	v_fma_f64 v[160:161], v[38:39], s[2:3], v[124:125]
	v_fma_f64 v[164:165], v[38:39], s[20:21], v[164:165]
	v_add_f64_e32 v[144:145], v[38:39], v[144:145]
	v_add_f64_e32 v[148:149], v[124:125], v[28:29]
	;; [unrolled: 1-line block ×3, first 2 shown]
	v_add_f64_e64 v[40:41], v[40:41], -v[42:43]
	v_fma_f64 v[28:29], v[30:31], s[2:3], v[124:125]
	v_fma_f64 v[160:161], v[30:31], s[20:21], v[160:161]
	v_add_f64_e32 v[124:125], v[124:125], v[142:143]
	v_add_f64_e32 v[150:151], v[42:43], v[132:133]
	v_add_f64_e64 v[42:43], v[44:45], -v[52:53]
	v_add_f64_e64 v[44:45], v[46:47], -v[54:55]
	v_add_f64_e64 v[52:53], v[58:59], -v[114:115]
	v_add_f64_e32 v[132:133], v[128:129], v[8:9]
	v_fma_f64 v[8:9], v[0:1], s[2:3], v[128:129]
	v_fma_f64 v[54:55], v[122:123], s[2:3], v[128:129]
	;; [unrolled: 1-line block ×3, first 2 shown]
	v_add_f64_e64 v[46:47], v[56:57], -v[112:113]
	v_fma_f64 v[56:57], v[138:139], s[2:3], v[130:131]
	v_fma_f64 v[112:113], v[16:17], s[2:3], v[130:131]
	v_add_f64_e32 v[114:115], v[128:129], v[18:19]
	v_add_f64_e32 v[128:129], v[130:131], v[24:25]
	v_fma_f64 v[130:131], v[32:33], s[2:3], v[126:127]
	s_mov_b32 s2, 0xe8584cab
	s_mov_b32 s3, 0x3febb67a
	s_wait_alu 0xfffe
	s_mov_b32 s18, s2
	v_fma_f64 v[168:169], v[20:21], s[2:3], v[168:169]
	s_wait_alu 0xfffe
	v_fma_f64 v[170:171], v[20:21], s[18:19], v[170:171]
	v_fma_f64 v[20:21], v[20:21], s[2:3], v[172:173]
	v_mul_f64_e32 v[172:173], s[10:11], v[4:5]
	v_fma_f64 v[174:175], v[22:23], s[18:19], v[174:175]
	v_fma_f64 v[28:29], v[140:141], s[20:21], v[28:29]
	v_fma_f64 v[160:161], v[142:143], -0.5, v[160:161]
	v_fma_f64 v[124:125], v[144:145], -0.5, v[124:125]
	v_add_f64_e32 v[144:145], v[158:159], v[154:155]
	v_add_f64_e32 v[150:151], v[126:127], v[150:151]
	;; [unrolled: 1-line block ×3, first 2 shown]
	v_fma_f64 v[8:9], v[6:7], s[20:21], v[8:9]
	v_fma_f64 v[54:55], v[0:1], s[20:21], v[54:55]
	;; [unrolled: 1-line block ×4, first 2 shown]
	v_fma_f64 v[36:37], v[36:37], -0.5, v[114:115]
	v_mul_f64_e32 v[114:115], s[16:17], v[146:147]
	v_fma_f64 v[130:131], v[156:157], s[20:21], v[130:131]
	v_fma_f64 v[172:173], v[14:15], s[14:15], v[172:173]
	v_fma_f64 v[28:29], v[142:143], -0.5, v[28:29]
	v_fma_f64 v[142:143], v[142:143], -0.5, v[164:165]
	v_fma_f64 v[164:165], v[158:159], s[20:21], v[166:167]
	v_fma_f64 v[126:127], v[144:145], -0.5, v[126:127]
	v_fma_f64 v[8:9], v[18:19], -0.5, v[8:9]
	;; [unrolled: 1-line block ×4, first 2 shown]
	v_fma_f64 v[58:59], v[138:139], s[20:21], v[112:113]
	v_fma_f64 v[56:57], v[24:25], -0.5, v[56:57]
	v_mul_f64_e32 v[112:113], s[10:11], v[26:27]
	v_fma_f64 v[114:115], v[26:27], s[14:15], v[114:115]
	v_fma_f64 v[130:131], v[152:153], -0.5, v[130:131]
	v_fma_f64 v[172:173], v[22:23], s[2:3], v[172:173]
	v_fma_f64 v[22:23], v[22:23], s[2:3], v[176:177]
	v_mul_f64_e32 v[176:177], s[14:15], v[40:41]
	v_fma_f64 v[164:165], v[152:153], -0.5, v[164:165]
	v_fma_f64 v[24:25], v[24:25], -0.5, v[58:59]
	v_add_f64_e32 v[58:59], v[138:139], v[118:119]
	v_mul_f64_e32 v[118:119], s[14:15], v[146:147]
	v_fma_f64 v[112:113], v[42:43], s[14:15], v[112:113]
	v_fma_f64 v[114:115], v[46:47], s[18:19], v[114:115]
	v_fma_f64 v[176:177], v[44:45], s[16:17], -v[176:177]
	v_fma_f64 v[58:59], v[58:59], -0.5, v[128:129]
	v_fma_f64 v[118:119], v[42:43], s[16:17], -v[118:119]
	v_fma_f64 v[112:113], v[46:47], s[2:3], v[112:113]
	v_mul_f64_e32 v[128:129], s[16:17], v[40:41]
	s_delay_alu instid0(VALU_DEP_3) | instskip(SKIP_1) | instid1(VALU_DEP_3)
	v_fma_f64 v[46:47], v[46:47], s[2:3], v[118:119]
	v_mul_f64_e32 v[118:119], s[10:11], v[34:35]
	v_fma_f64 v[128:129], v[34:35], s[14:15], v[128:129]
	s_mov_b32 s10, 0x42522d1b
	s_mov_b32 s11, 0xbfee11f6
	s_wait_alu 0xfffe
	v_fma_f64 v[8:9], v[122:123], s[10:11], v[8:9]
	v_fma_f64 v[10:11], v[138:139], s[10:11], v[10:11]
	;; [unrolled: 1-line block ×5, first 2 shown]
	v_add_f64_e32 v[28:29], v[146:147], v[26:27]
	v_fma_f64 v[6:7], v[6:7], s[10:11], v[54:55]
	v_fma_f64 v[16:17], v[16:17], s[10:11], v[56:57]
	;; [unrolled: 1-line block ×6, first 2 shown]
	s_mov_b32 s14, 0x748a0bf8
	s_mov_b32 s15, 0x3fd5e3a8
	v_fma_f64 v[128:129], v[52:53], s[18:19], v[128:129]
	s_wait_alu 0xfffe
	v_fma_f64 v[122:123], v[120:121], s[14:15], v[168:169]
	v_add_f64_e32 v[120:121], v[120:121], v[116:117]
	v_fma_f64 v[138:139], v[136:137], s[14:15], v[172:173]
	v_add_f64_e32 v[136:137], v[136:137], v[4:5]
	v_fma_f64 v[20:21], v[116:117], s[14:15], v[20:21]
	v_fma_f64 v[4:5], v[4:5], s[14:15], v[22:23]
	;; [unrolled: 1-line block ×4, first 2 shown]
	v_add_f64_e64 v[28:29], v[28:29], -v[42:43]
	v_fma_f64 v[26:27], v[26:27], s[14:15], v[46:47]
	v_fma_f64 v[118:119], v[52:53], s[2:3], v[118:119]
	;; [unrolled: 1-line block ×3, first 2 shown]
	v_add_f64_e64 v[158:159], v[10:11], -v[122:123]
	v_add_f64_e64 v[120:121], v[120:121], -v[12:13]
	v_fma_f64 v[12:13], v[12:13], s[14:15], v[170:171]
	v_add_f64_e64 v[136:137], v[136:137], -v[14:15]
	v_fma_f64 v[14:15], v[14:15], s[14:15], v[174:175]
	v_add_f64_e32 v[164:165], v[4:5], v[0:1]
	v_add_f64_e64 v[166:167], v[2:3], -v[20:21]
	v_add_f64_e32 v[156:157], v[138:139], v[8:9]
	v_fma_f64 v[190:191], v[28:29], s[18:19], v[126:127]
	v_add_f64_e64 v[194:195], v[22:23], -v[24:25]
	v_add_f64_e64 v[174:175], v[32:33], -v[26:27]
	v_fma_f64 v[38:39], v[40:41], s[14:15], v[118:119]
	v_add_f64_e32 v[40:41], v[40:41], v[34:35]
	v_fma_f64 v[34:35], v[34:35], s[14:15], v[52:53]
	v_fma_f64 v[186:187], v[122:123], 2.0, v[158:159]
	v_fma_f64 v[154:155], v[120:121], s[18:19], v[58:59]
	v_mul_f64_e32 v[2:3], s[2:3], v[120:121]
	v_fma_f64 v[152:153], v[136:137], s[2:3], v[36:37]
	v_fma_f64 v[36:37], v[42:43], s[14:15], v[114:115]
	;; [unrolled: 1-line block ×3, first 2 shown]
	v_mul_f64_e32 v[0:1], s[2:3], v[136:137]
	v_add_f64_e64 v[162:163], v[16:17], -v[12:13]
	v_fma_f64 v[184:185], v[138:139], -2.0, v[156:157]
	v_fma_f64 v[176:177], v[4:5], -2.0, v[164:165]
	v_fma_f64 v[178:179], v[20:21], 2.0, v[166:167]
	v_fma_f64 v[146:147], v[26:27], 2.0, v[174:175]
	v_add_f64_e32 v[192:193], v[38:39], v[18:19]
	v_add_f64_e64 v[40:41], v[40:41], -v[44:45]
	v_fma_f64 v[44:45], v[140:141], s[10:11], v[160:161]
	v_add_f64_e32 v[160:161], v[14:15], v[6:7]
	v_add_f64_e32 v[172:173], v[34:35], v[30:31]
	v_fma_f64 v[170:171], v[2:3], 2.0, v[154:155]
	v_mul_f64_e32 v[2:3], s[2:3], v[28:29]
	v_add_f64_e64 v[198:199], v[54:55], -v[36:37]
	v_fma_f64 v[168:169], v[0:1], -2.0, v[152:153]
	v_fma_f64 v[182:183], v[12:13], 2.0, v[162:163]
	v_fma_f64 v[188:189], v[40:41], s[2:3], v[124:125]
	v_add_f64_e32 v[196:197], v[42:43], v[44:45]
	v_mul_f64_e32 v[0:1], s[2:3], v[40:41]
	v_fma_f64 v[180:181], v[14:15], -2.0, v[160:161]
	v_fma_f64 v[144:145], v[34:35], -2.0, v[172:173]
	v_fma_f64 v[142:143], v[2:3], 2.0, v[190:191]
	v_fma_f64 v[2:3], v[24:25], 2.0, v[194:195]
	v_fma_f64 v[138:139], v[36:37], 2.0, v[198:199]
	v_fma_f64 v[136:137], v[42:43], -2.0, v[196:197]
	v_fma_f64 v[140:141], v[0:1], -2.0, v[188:189]
	;; [unrolled: 1-line block ×3, first 2 shown]
	s_clause 0x1
	scratch_store_b128 off, v[48:51], off offset:396
	scratch_store_b128 off, v[0:3], off offset:12
	ds_store_b128 v255, v[132:135]
	ds_store_b128 v255, v[156:159] offset:3536
	ds_store_b128 v255, v[160:163] offset:7072
	;; [unrolled: 1-line block ×8, first 2 shown]
	s_and_saveexec_b32 s1, s0
	s_cbranch_execz .LBB0_11
; %bb.10:
	ds_store_b128 v255, v[148:151] offset:2448
	ds_store_b128 v255, v[192:195] offset:5984
	ds_store_b128 v255, v[196:199] offset:9520
	ds_store_b128 v255, v[188:191] offset:13056
	ds_store_b128 v255, v[172:175] offset:16592
	ds_store_b128 v255, v[144:147] offset:20128
	ds_store_b128 v255, v[140:143] offset:23664
	ds_store_b128 v255, v[136:139] offset:27200
	scratch_load_b128 v[0:3], off, off offset:12 ; 16-byte Folded Reload
	s_wait_loadcnt 0x0
	ds_store_b128 v255, v[0:3] offset:30736
.LBB0_11:
	s_wait_alu 0xfffe
	s_or_b32 exec_lo, exec_lo, s1
	global_wb scope:SCOPE_SE
	s_wait_storecnt_dscnt 0x0
	s_barrier_signal -1
	s_barrier_wait -1
	global_inv scope:SCOPE_SE
	s_and_saveexec_b32 s1, vcc_lo
	s_cbranch_execz .LBB0_13
; %bb.12:
	global_load_b128 v[116:119], v255, s[8:9] offset:31824
	s_add_nc_u64 s[2:3], s[8:9], 0x7c50
	s_clause 0x8
	global_load_b128 v[120:123], v255, s[2:3] offset:1872
	global_load_b128 v[124:127], v255, s[2:3] offset:3744
	;; [unrolled: 1-line block ×9, first 2 shown]
	ds_load_b128 v[213:216], v255
	global_load_b128 v[217:220], v255, s[2:3] offset:18720
	ds_load_b128 v[221:224], v255 offset:1872
	ds_load_b128 v[225:228], v255 offset:29952
	s_wait_loadcnt_dscnt 0x901
	v_mul_f64_e32 v[4:5], v[223:224], v[122:123]
	v_mul_f64_e32 v[6:7], v[221:222], v[122:123]
	;; [unrolled: 1-line block ×4, first 2 shown]
	s_delay_alu instid0(VALU_DEP_4) | instskip(NEXT) | instid1(VALU_DEP_4)
	v_fma_f64 v[221:222], v[221:222], v[120:121], -v[4:5]
	v_fma_f64 v[223:224], v[223:224], v[120:121], v[6:7]
	s_delay_alu instid0(VALU_DEP_4) | instskip(NEXT) | instid1(VALU_DEP_4)
	v_fma_f64 v[213:214], v[213:214], v[116:117], -v[0:1]
	v_fma_f64 v[215:216], v[215:216], v[116:117], v[2:3]
	ds_load_b128 v[116:119], v255 offset:3744
	ds_load_b128 v[229:232], v255 offset:5616
	s_wait_loadcnt_dscnt 0x801
	v_mul_f64_e32 v[0:1], v[118:119], v[126:127]
	v_mul_f64_e32 v[2:3], v[116:117], v[126:127]
	s_wait_loadcnt_dscnt 0x700
	v_mul_f64_e32 v[4:5], v[231:232], v[130:131]
	v_mul_f64_e32 v[6:7], v[229:230], v[130:131]
	s_delay_alu instid0(VALU_DEP_4) | instskip(NEXT) | instid1(VALU_DEP_4)
	v_fma_f64 v[116:117], v[116:117], v[124:125], -v[0:1]
	v_fma_f64 v[118:119], v[118:119], v[124:125], v[2:3]
	ds_load_b128 v[120:123], v255 offset:7488
	ds_load_b128 v[124:127], v255 offset:9360
	v_fma_f64 v[229:230], v[229:230], v[128:129], -v[4:5]
	v_fma_f64 v[231:232], v[231:232], v[128:129], v[6:7]
	s_wait_loadcnt_dscnt 0x601
	v_mul_f64_e32 v[0:1], v[122:123], v[202:203]
	v_mul_f64_e32 v[2:3], v[120:121], v[202:203]
	s_wait_loadcnt_dscnt 0x500
	v_mul_f64_e32 v[4:5], v[126:127], v[54:55]
	v_mul_f64_e32 v[6:7], v[124:125], v[54:55]
	s_delay_alu instid0(VALU_DEP_4) | instskip(NEXT) | instid1(VALU_DEP_4)
	v_fma_f64 v[120:121], v[120:121], v[200:201], -v[0:1]
	v_fma_f64 v[122:123], v[122:123], v[200:201], v[2:3]
	ds_load_b128 v[128:131], v255 offset:11232
	ds_load_b128 v[200:203], v255 offset:13104
	v_fma_f64 v[124:125], v[124:125], v[52:53], -v[4:5]
	v_fma_f64 v[126:127], v[126:127], v[52:53], v[6:7]
	;; [unrolled: 13-line block ×3, first 2 shown]
	global_load_b128 v[112:115], v255, s[2:3] offset:20592
	s_wait_loadcnt_dscnt 0x301
	v_mul_f64_e32 v[0:1], v[58:59], v[207:208]
	v_mul_f64_e32 v[2:3], v[56:57], v[207:208]
	s_wait_loadcnt_dscnt 0x200
	v_mul_f64_e32 v[4:5], v[130:131], v[211:212]
	v_mul_f64_e32 v[6:7], v[128:129], v[211:212]
	s_delay_alu instid0(VALU_DEP_4) | instskip(NEXT) | instid1(VALU_DEP_4)
	v_fma_f64 v[56:57], v[56:57], v[205:206], -v[0:1]
	v_fma_f64 v[58:59], v[58:59], v[205:206], v[2:3]
	ds_load_b128 v[205:208], v255 offset:18720
	v_fma_f64 v[128:129], v[128:129], v[209:210], -v[4:5]
	v_fma_f64 v[130:131], v[130:131], v[209:210], v[6:7]
	ds_load_b128 v[209:212], v255 offset:20592
	s_wait_loadcnt_dscnt 0x101
	v_mul_f64_e32 v[0:1], v[207:208], v[219:220]
	v_mul_f64_e32 v[2:3], v[205:206], v[219:220]
	s_delay_alu instid0(VALU_DEP_2) | instskip(NEXT) | instid1(VALU_DEP_2)
	v_fma_f64 v[205:206], v[205:206], v[217:218], -v[0:1]
	v_fma_f64 v[207:208], v[207:208], v[217:218], v[2:3]
	global_load_b128 v[217:220], v255, s[2:3] offset:22464
	s_wait_loadcnt_dscnt 0x100
	v_mul_f64_e32 v[0:1], v[211:212], v[114:115]
	v_mul_f64_e32 v[2:3], v[209:210], v[114:115]
	s_delay_alu instid0(VALU_DEP_2) | instskip(NEXT) | instid1(VALU_DEP_2)
	v_fma_f64 v[209:210], v[209:210], v[112:113], -v[0:1]
	v_fma_f64 v[211:212], v[211:212], v[112:113], v[2:3]
	ds_load_b128 v[112:115], v255 offset:22464
	ds_load_b128 v[233:236], v255 offset:24336
	s_wait_loadcnt_dscnt 0x1
	v_mul_f64_e32 v[0:1], v[114:115], v[219:220]
	v_mul_f64_e32 v[2:3], v[112:113], v[219:220]
	s_delay_alu instid0(VALU_DEP_2) | instskip(NEXT) | instid1(VALU_DEP_2)
	v_fma_f64 v[112:113], v[112:113], v[217:218], -v[0:1]
	v_fma_f64 v[114:115], v[114:115], v[217:218], v[2:3]
	s_clause 0x1
	global_load_b128 v[217:220], v255, s[2:3] offset:24336
	global_load_b128 v[237:240], v255, s[2:3] offset:26208
	s_wait_loadcnt_dscnt 0x100
	v_mul_f64_e32 v[0:1], v[235:236], v[219:220]
	v_mul_f64_e32 v[2:3], v[233:234], v[219:220]
	s_delay_alu instid0(VALU_DEP_2) | instskip(NEXT) | instid1(VALU_DEP_2)
	v_fma_f64 v[233:234], v[233:234], v[217:218], -v[0:1]
	v_fma_f64 v[235:236], v[235:236], v[217:218], v[2:3]
	ds_load_b128 v[217:220], v255 offset:26208
	ds_load_b128 v[241:244], v255 offset:28080
	s_wait_loadcnt_dscnt 0x1
	v_mul_f64_e32 v[0:1], v[219:220], v[239:240]
	v_mul_f64_e32 v[2:3], v[217:218], v[239:240]
	s_delay_alu instid0(VALU_DEP_2) | instskip(NEXT) | instid1(VALU_DEP_2)
	v_fma_f64 v[217:218], v[217:218], v[237:238], -v[0:1]
	v_fma_f64 v[219:220], v[219:220], v[237:238], v[2:3]
	s_clause 0x1
	global_load_b128 v[237:240], v255, s[2:3] offset:28080
	global_load_b128 v[245:248], v255, s[2:3] offset:29952
	s_wait_loadcnt_dscnt 0x100
	v_mul_f64_e32 v[0:1], v[243:244], v[239:240]
	v_mul_f64_e32 v[2:3], v[241:242], v[239:240]
	s_delay_alu instid0(VALU_DEP_2) | instskip(NEXT) | instid1(VALU_DEP_2)
	v_fma_f64 v[239:240], v[241:242], v[237:238], -v[0:1]
	v_fma_f64 v[241:242], v[243:244], v[237:238], v[2:3]
	s_wait_loadcnt 0x0
	v_mul_f64_e32 v[0:1], v[227:228], v[247:248]
	v_mul_f64_e32 v[2:3], v[225:226], v[247:248]
	s_delay_alu instid0(VALU_DEP_2) | instskip(NEXT) | instid1(VALU_DEP_2)
	v_fma_f64 v[225:226], v[225:226], v[245:246], -v[0:1]
	v_fma_f64 v[227:228], v[227:228], v[245:246], v[2:3]
	ds_store_b128 v255, v[213:216]
	ds_store_b128 v255, v[221:224] offset:1872
	ds_store_b128 v255, v[116:119] offset:3744
	;; [unrolled: 1-line block ×16, first 2 shown]
.LBB0_13:
	s_wait_alu 0xfffe
	s_or_b32 exec_lo, exec_lo, s1
	global_wb scope:SCOPE_SE
	s_wait_dscnt 0x0
	s_barrier_signal -1
	s_barrier_wait -1
	global_inv scope:SCOPE_SE
	s_and_saveexec_b32 s1, vcc_lo
	s_cbranch_execz .LBB0_15
; %bb.14:
	ds_load_b128 v[132:135], v255
	ds_load_b128 v[156:159], v255 offset:1872
	ds_load_b128 v[160:163], v255 offset:3744
	;; [unrolled: 1-line block ×16, first 2 shown]
.LBB0_15:
	s_wait_alu 0xfffe
	s_or_b32 exec_lo, exec_lo, s1
	s_wait_dscnt 0x0
	v_add_f64_e64 v[251:252], v[158:159], -v[138:139]
	s_mov_b32 s16, 0x5d8e7cdc
	s_mov_b32 s17, 0xbfd71e95
	v_add_f64_e32 v[223:224], v[156:157], v[136:137]
	v_add_f64_e64 v[215:216], v[162:163], -v[142:143]
	v_add_f64_e32 v[213:214], v[162:163], v[142:143]
	s_mov_b32 s2, 0x370991
	s_mov_b32 s10, 0x75d4884
	;; [unrolled: 1-line block ×6, first 2 shown]
	v_add_f64_e32 v[200:201], v[160:161], v[140:141]
	v_add_f64_e32 v[56:57], v[158:159], v[138:139]
	v_add_f64_e64 v[54:55], v[156:157], -v[136:137]
	v_add_f64_e64 v[209:210], v[160:161], -v[140:141]
	v_add_f64_e64 v[227:228], v[154:155], -v[146:147]
	s_mov_b32 s20, 0x7c9e640b
	s_mov_b32 s21, 0xbfeca52d
	v_add_f64_e32 v[205:206], v[152:153], v[144:145]
	s_mov_b32 s18, 0x2b2883cd
	s_mov_b32 s19, 0x3fdc86fa
	v_add_f64_e32 v[225:226], v[154:155], v[146:147]
	v_add_f64_e64 v[221:222], v[152:153], -v[144:145]
	v_add_f64_e64 v[239:240], v[166:167], -v[174:175]
	s_mov_b32 s24, 0xeb564b22
	s_mov_b32 s25, 0xbfefdd0d
	v_add_f64_e32 v[217:218], v[164:165], v[172:173]
	v_add_f64_e32 v[237:238], v[166:167], v[174:175]
	s_mov_b32 s22, 0x3259b75e
	s_mov_b32 s23, 0x3fb79ee6
	v_add_f64_e64 v[229:230], v[164:165], -v[172:173]
	v_add_f64_e64 v[247:248], v[178:179], -v[190:191]
	s_mov_b32 s44, 0x923c349f
	s_mov_b32 s45, 0x3feec746
	s_mov_b32 s29, 0xbfeec746
	s_wait_alu 0xfffe
	s_mov_b32 s28, s44
	v_add_f64_e32 v[233:234], v[176:177], v[188:189]
	v_mul_f64_e32 v[0:1], s[16:17], v[251:252]
	v_add_f64_e32 v[253:254], v[178:179], v[190:191]
	s_mov_b32 s26, 0xc61f0d01
	s_mov_b32 s27, 0xbfd183b1
	v_mul_f64_e32 v[2:3], s[14:15], v[215:216]
	v_mul_f64_e32 v[4:5], s[10:11], v[213:214]
	v_add_f64_e64 v[245:246], v[176:177], -v[188:189]
	v_add_f64_e64 v[231:232], v[170:171], -v[198:199]
	s_mov_b32 s34, 0x6c9a05f6
	s_mov_b32 s35, 0xbfe9895b
	v_add_f64_e32 v[241:242], v[168:169], v[196:197]
	v_add_f64_e32 v[207:208], v[170:171], v[198:199]
	s_mov_b32 s30, 0x6ed5f1bb
	v_mul_f64_e32 v[30:31], s[2:3], v[56:57]
	s_mov_b32 s31, 0xbfe348c8
	v_add_f64_e64 v[202:203], v[168:169], -v[196:197]
	v_mul_f64_e32 v[36:37], s[20:21], v[227:228]
	v_add_f64_e64 v[114:115], v[182:183], -v[194:195]
	s_mov_b32 s46, 0x4363dd80
	s_mov_b32 s47, 0x3fe0d888
	;; [unrolled: 1-line block ×3, first 2 shown]
	s_wait_alu 0xfffe
	s_mov_b32 s38, s46
	v_add_f64_e32 v[249:250], v[180:181], v[192:193]
	v_add_f64_e32 v[243:244], v[182:183], v[194:195]
	s_mov_b32 s36, 0x910ea3b9
	s_mov_b32 s37, 0xbfeb34fa
	v_add_f64_e64 v[235:236], v[180:181], -v[192:193]
	v_add_f64_e64 v[52:53], v[186:187], -v[150:151]
	v_mul_f64_e32 v[44:45], s[22:23], v[237:238]
	s_mov_b32 s42, 0xacd6c6b4
	s_mov_b32 s43, 0xbfc7851a
	v_add_f64_e32 v[211:212], v[184:185], v[148:149]
	v_mul_f64_e32 v[46:47], s[28:29], v[247:248]
	v_add_f64_e32 v[112:113], v[186:187], v[150:151]
	s_mov_b32 s40, 0x7faef3
	s_mov_b32 s41, 0xbfef7484
	v_add_f64_e64 v[219:220], v[184:185], -v[148:149]
	v_mul_f64_e32 v[68:69], s[14:15], v[251:252]
	scratch_store_b64 off, v[0:1], off offset:508 ; 8-byte Folded Spill
	v_fma_f64 v[0:1], v[223:224], s[2:3], -v[0:1]
	v_mul_f64_e32 v[50:51], s[26:27], v[253:254]
	v_mul_f64_e32 v[76:77], s[24:25], v[215:216]
	s_clause 0x1
	scratch_store_b64 off, v[2:3], off offset:532
	scratch_store_b64 off, v[4:5], off offset:516
	v_fma_f64 v[2:3], v[200:201], s[10:11], -v[2:3]
	v_fma_f64 v[4:5], v[209:210], s[14:15], v[4:5]
	v_mul_f64_e32 v[48:49], s[34:35], v[231:232]
	v_mul_f64_e32 v[82:83], s[22:23], v[213:214]
	;; [unrolled: 1-line block ×5, first 2 shown]
	s_wait_alu 0xfffe
	v_mul_f64_e32 v[80:81], s[42:43], v[239:240]
	v_mul_f64_e32 v[96:97], s[40:41], v[237:238]
	;; [unrolled: 1-line block ×7, first 2 shown]
	s_mov_b32 s49, 0x3feca52d
	s_mov_b32 s48, s20
	;; [unrolled: 1-line block ×3, first 2 shown]
	v_mul_f64_e32 v[34:35], s[36:37], v[243:244]
	s_wait_alu 0xfffe
	v_mul_f64_e32 v[88:89], s[48:49], v[114:115]
	v_mul_f64_e32 v[100:101], s[18:19], v[243:244]
	s_mov_b32 s52, s16
	v_mul_f64_e32 v[42:43], s[42:43], v[52:53]
	s_wait_alu 0xfffe
	v_mul_f64_e32 v[90:91], s[52:53], v[52:53]
	v_mul_f64_e32 v[84:85], s[34:35], v[215:216]
	;; [unrolled: 1-line block ×3, first 2 shown]
	s_mov_b32 s55, 0x3fc7851a
	s_mov_b32 s54, s42
	v_mul_f64_e32 v[62:63], s[40:41], v[112:113]
	v_mul_f64_e32 v[108:109], s[2:3], v[112:113]
	s_wait_alu 0xfffe
	v_mul_f64_e32 v[94:95], s[54:55], v[227:228]
	v_mul_f64_e32 v[10:11], s[40:41], v[225:226]
	;; [unrolled: 1-line block ×4, first 2 shown]
	v_add_f64_e32 v[0:1], v[132:133], v[0:1]
	s_mov_b32 s51, 0x3fe58eea
	s_mov_b32 s50, s14
	v_mul_f64_e32 v[118:119], s[10:11], v[253:254]
	s_wait_alu 0xfffe
	v_mul_f64_e32 v[22:23], s[50:51], v[247:248]
	v_mul_f64_e32 v[110:111], s[16:17], v[231:232]
	;; [unrolled: 1-line block ×17, first 2 shown]
	s_mov_b32 s57, 0x3fe9895b
	s_mov_b32 s56, s34
	v_mul_f64_e32 v[66:67], s[30:31], v[243:244]
	s_wait_alu 0xfffe
	v_mul_f64_e32 v[116:117], s[56:57], v[114:115]
	v_mul_f64_e32 v[70:71], s[50:51], v[52:53]
	v_add_f64_e32 v[0:1], v[2:3], v[0:1]
	v_fma_f64 v[2:3], v[54:55], s[16:17], v[30:31]
	s_delay_alu instid0(VALU_DEP_1) | instskip(NEXT) | instid1(VALU_DEP_1)
	v_add_f64_e32 v[2:3], v[134:135], v[2:3]
	v_add_f64_e32 v[2:3], v[4:5], v[2:3]
	v_fma_f64 v[4:5], v[205:206], s[18:19], -v[36:37]
	s_delay_alu instid0(VALU_DEP_1) | instskip(SKIP_3) | instid1(VALU_DEP_1)
	v_add_f64_e32 v[0:1], v[4:5], v[0:1]
	v_mul_f64_e32 v[4:5], s[18:19], v[225:226]
	scratch_store_b64 off, v[4:5], off offset:524 ; 8-byte Folded Spill
	v_fma_f64 v[4:5], v[221:222], s[20:21], v[4:5]
	v_add_f64_e32 v[2:3], v[4:5], v[2:3]
	v_mul_f64_e32 v[4:5], s[24:25], v[239:240]
	scratch_store_b64 off, v[4:5], off offset:540 ; 8-byte Folded Spill
	v_fma_f64 v[4:5], v[217:218], s[22:23], -v[4:5]
	s_delay_alu instid0(VALU_DEP_1) | instskip(SKIP_1) | instid1(VALU_DEP_1)
	v_add_f64_e32 v[0:1], v[4:5], v[0:1]
	v_fma_f64 v[4:5], v[229:230], s[24:25], v[44:45]
	v_add_f64_e32 v[2:3], v[4:5], v[2:3]
	v_fma_f64 v[4:5], v[233:234], s[26:27], -v[46:47]
	s_delay_alu instid0(VALU_DEP_1) | instskip(SKIP_1) | instid1(VALU_DEP_1)
	v_add_f64_e32 v[0:1], v[4:5], v[0:1]
	v_fma_f64 v[4:5], v[245:246], s[28:29], v[50:51]
	v_add_f64_e32 v[2:3], v[4:5], v[2:3]
	;; [unrolled: 5-line block ×5, first 2 shown]
	v_fma_f64 v[0:1], v[223:224], s[10:11], -v[68:69]
	v_fma_f64 v[2:3], v[200:201], s[22:23], -v[76:77]
	s_delay_alu instid0(VALU_DEP_2) | instskip(NEXT) | instid1(VALU_DEP_1)
	v_add_f64_e32 v[0:1], v[132:133], v[0:1]
	v_add_f64_e32 v[0:1], v[2:3], v[0:1]
	v_mul_f64_e32 v[2:3], s[10:11], v[56:57]
	scratch_store_b128 off, v[4:7], off offset:28 ; 16-byte Folded Spill
	v_fma_f64 v[4:5], v[209:210], s[24:25], v[82:83]
	scratch_store_b64 off, v[2:3], off offset:548 ; 8-byte Folded Spill
	v_fma_f64 v[2:3], v[54:55], s[14:15], v[2:3]
	s_delay_alu instid0(VALU_DEP_1) | instskip(NEXT) | instid1(VALU_DEP_1)
	v_add_f64_e32 v[2:3], v[134:135], v[2:3]
	v_add_f64_e32 v[2:3], v[4:5], v[2:3]
	v_fma_f64 v[4:5], v[205:206], s[30:31], -v[78:79]
	s_delay_alu instid0(VALU_DEP_1) | instskip(SKIP_1) | instid1(VALU_DEP_1)
	v_add_f64_e32 v[0:1], v[4:5], v[0:1]
	v_fma_f64 v[4:5], v[221:222], s[34:35], v[86:87]
	v_add_f64_e32 v[2:3], v[4:5], v[2:3]
	v_fma_f64 v[4:5], v[217:218], s[40:41], -v[80:81]
	s_delay_alu instid0(VALU_DEP_1) | instskip(SKIP_1) | instid1(VALU_DEP_1)
	v_add_f64_e32 v[0:1], v[4:5], v[0:1]
	v_fma_f64 v[4:5], v[229:230], s[42:43], v[96:97]
	;; [unrolled: 5-line block ×6, first 2 shown]
	v_add_f64_e32 v[6:7], v[0:1], v[2:3]
	v_mul_f64_e32 v[0:1], s[20:21], v[251:252]
	v_fma_f64 v[2:3], v[200:201], s[30:31], -v[84:85]
	s_clause 0x1
	scratch_store_b128 off, v[4:7], off offset:44
	scratch_store_b64 off, v[0:1], off offset:556
	v_fma_f64 v[0:1], v[223:224], s[18:19], -v[0:1]
	v_fma_f64 v[4:5], v[209:210], s[34:35], v[102:103]
	v_mul_f64_e32 v[6:7], s[38:39], v[52:53]
	s_delay_alu instid0(VALU_DEP_3) | instskip(NEXT) | instid1(VALU_DEP_1)
	v_add_f64_e32 v[0:1], v[132:133], v[0:1]
	v_add_f64_e32 v[0:1], v[2:3], v[0:1]
	v_mul_f64_e32 v[2:3], s[18:19], v[56:57]
	scratch_store_b64 off, v[2:3], off offset:564 ; 8-byte Folded Spill
	v_fma_f64 v[2:3], v[54:55], s[20:21], v[2:3]
	s_delay_alu instid0(VALU_DEP_1) | instskip(NEXT) | instid1(VALU_DEP_1)
	v_add_f64_e32 v[2:3], v[134:135], v[2:3]
	v_add_f64_e32 v[2:3], v[4:5], v[2:3]
	v_fma_f64 v[4:5], v[205:206], s[40:41], -v[94:95]
	s_delay_alu instid0(VALU_DEP_1) | instskip(SKIP_1) | instid1(VALU_DEP_1)
	v_add_f64_e32 v[0:1], v[4:5], v[0:1]
	v_fma_f64 v[4:5], v[221:222], s[54:55], v[10:11]
	v_add_f64_e32 v[2:3], v[4:5], v[2:3]
	v_fma_f64 v[4:5], v[217:218], s[26:27], -v[98:99]
	s_delay_alu instid0(VALU_DEP_1) | instskip(SKIP_1) | instid1(VALU_DEP_1)
	v_add_f64_e32 v[0:1], v[4:5], v[0:1]
	v_fma_f64 v[4:5], v[229:230], s[44:45], v[26:27]
	;; [unrolled: 5-line block ×5, first 2 shown]
	v_add_f64_e32 v[2:3], v[4:5], v[2:3]
	v_fma_f64 v[4:5], v[211:212], s[36:37], -v[6:7]
	s_delay_alu instid0(VALU_DEP_1) | instskip(SKIP_2) | instid1(VALU_DEP_2)
	v_add_f64_e32 v[124:125], v[4:5], v[0:1]
	v_fma_f64 v[0:1], v[219:220], s[38:39], v[32:33]
	v_fma_f64 v[4:5], v[209:210], s[42:43], v[18:19]
	v_add_f64_e32 v[126:127], v[0:1], v[2:3]
	v_mul_f64_e32 v[0:1], s[24:25], v[251:252]
	v_fma_f64 v[2:3], v[200:201], s[40:41], -v[104:105]
	scratch_store_b64 off, v[0:1], off offset:572 ; 8-byte Folded Spill
	v_fma_f64 v[0:1], v[223:224], s[22:23], -v[0:1]
	global_wb scope:SCOPE_SE
	s_wait_storecnt 0x0
	s_barrier_signal -1
	s_barrier_wait -1
	global_inv scope:SCOPE_SE
	v_add_f64_e32 v[0:1], v[132:133], v[0:1]
	s_delay_alu instid0(VALU_DEP_1) | instskip(SKIP_1) | instid1(VALU_DEP_1)
	v_add_f64_e32 v[0:1], v[2:3], v[0:1]
	v_fma_f64 v[2:3], v[54:55], s[24:25], v[58:59]
	v_add_f64_e32 v[2:3], v[134:135], v[2:3]
	s_delay_alu instid0(VALU_DEP_1) | instskip(SKIP_1) | instid1(VALU_DEP_1)
	v_add_f64_e32 v[2:3], v[4:5], v[2:3]
	v_fma_f64 v[4:5], v[205:206], s[26:27], -v[12:13]
	v_add_f64_e32 v[0:1], v[4:5], v[0:1]
	v_fma_f64 v[4:5], v[221:222], s[44:45], v[74:75]
	s_delay_alu instid0(VALU_DEP_1) | instskip(SKIP_1) | instid1(VALU_DEP_1)
	v_add_f64_e32 v[2:3], v[4:5], v[2:3]
	v_fma_f64 v[4:5], v[217:218], s[2:3], -v[16:17]
	v_add_f64_e32 v[0:1], v[4:5], v[0:1]
	v_fma_f64 v[4:5], v[229:230], s[52:53], v[64:65]
	;; [unrolled: 5-line block ×5, first 2 shown]
	s_delay_alu instid0(VALU_DEP_1) | instskip(SKIP_1) | instid1(VALU_DEP_1)
	v_add_f64_e32 v[2:3], v[4:5], v[2:3]
	v_fma_f64 v[4:5], v[211:212], s[10:11], -v[70:71]
	v_add_f64_e32 v[128:129], v[4:5], v[0:1]
	v_mul_f64_e32 v[4:5], s[10:11], v[112:113]
	s_delay_alu instid0(VALU_DEP_1) | instskip(NEXT) | instid1(VALU_DEP_1)
	v_fma_f64 v[0:1], v[219:220], s[50:51], v[4:5]
	v_add_f64_e32 v[130:131], v[0:1], v[2:3]
	s_and_saveexec_b32 s1, vcc_lo
	s_cbranch_execz .LBB0_17
; %bb.16:
	v_add_f64_e32 v[0:1], v[134:135], v[158:159]
	v_add_f64_e32 v[2:3], v[132:133], v[156:157]
	v_mul_f64_e32 v[156:157], s[28:29], v[114:115]
	s_mov_b32 s59, 0x3fefdd0d
	s_mov_b32 s58, s24
	s_delay_alu instid0(SALU_CYCLE_1) | instskip(NEXT) | instid1(VALU_DEP_4)
	v_mul_f64_e32 v[158:159], s[58:59], v[219:220]
	v_add_f64_e32 v[0:1], v[0:1], v[162:163]
	s_delay_alu instid0(VALU_DEP_4)
	v_add_f64_e32 v[2:3], v[2:3], v[160:161]
	v_dual_mov_b32 v161, v9 :: v_dual_mov_b32 v160, v8
	v_mul_f64_e32 v[8:9], s[34:35], v[54:55]
	v_dual_mov_b32 v163, v7 :: v_dual_mov_b32 v162, v6
	v_add_f64_e32 v[0:1], v[0:1], v[154:155]
	v_add_f64_e32 v[2:3], v[2:3], v[152:153]
	v_mul_f64_e32 v[152:153], s[48:49], v[231:232]
	v_mul_f64_e32 v[154:155], s[28:29], v[235:236]
	s_delay_alu instid0(VALU_DEP_4) | instskip(NEXT) | instid1(VALU_DEP_4)
	v_add_f64_e32 v[0:1], v[0:1], v[166:167]
	v_add_f64_e32 v[2:3], v[2:3], v[164:165]
	v_mul_f64_e32 v[164:165], s[56:57], v[239:240]
	v_mul_f64_e32 v[166:167], s[16:17], v[245:246]
	s_delay_alu instid0(VALU_DEP_4) | instskip(NEXT) | instid1(VALU_DEP_4)
	;; [unrolled: 5-line block ×4, first 2 shown]
	v_add_f64_e32 v[0:1], v[0:1], v[182:183]
	v_add_f64_e32 v[2:3], v[2:3], v[180:181]
	v_dual_mov_b32 v183, v13 :: v_dual_mov_b32 v182, v12
	v_mul_f64_e32 v[12:13], s[28:29], v[54:55]
	v_dual_mov_b32 v181, v11 :: v_dual_mov_b32 v180, v10
	v_fma_f64 v[10:11], v[56:57], s[30:31], v[8:9]
	v_fma_f64 v[8:9], v[56:57], s[30:31], -v[8:9]
	v_add_f64_e32 v[0:1], v[0:1], v[186:187]
	v_add_f64_e32 v[2:3], v[2:3], v[184:185]
	v_dual_mov_b32 v185, v15 :: v_dual_mov_b32 v184, v14
	v_fma_f64 v[14:15], v[56:57], s[26:27], v[12:13]
	v_fma_f64 v[12:13], v[56:57], s[26:27], -v[12:13]
	v_dual_mov_b32 v187, v17 :: v_dual_mov_b32 v186, v16
	v_mul_f64_e32 v[16:17], s[24:25], v[54:55]
	v_add_f64_e32 v[10:11], v[134:135], v[10:11]
	v_add_f64_e32 v[8:9], v[134:135], v[8:9]
	;; [unrolled: 1-line block ×4, first 2 shown]
	v_mul_f64_e32 v[148:149], s[34:35], v[247:248]
	v_mul_f64_e32 v[150:151], s[48:49], v[202:203]
	v_add_f64_e32 v[14:15], v[134:135], v[14:15]
	v_add_f64_e32 v[12:13], v[134:135], v[12:13]
	v_add_f64_e64 v[16:17], v[58:59], -v[16:17]
	v_add_f64_e32 v[0:1], v[0:1], v[194:195]
	v_add_f64_e32 v[2:3], v[2:3], v[192:193]
	v_dual_mov_b32 v193, v23 :: v_dual_mov_b32 v192, v22
	v_mul_f64_e32 v[22:23], s[18:19], v[223:224]
	v_dual_mov_b32 v195, v25 :: v_dual_mov_b32 v194, v24
	v_mul_f64_e32 v[24:25], s[14:15], v[54:55]
	v_add_f64_e32 v[16:17], v[134:135], v[16:17]
	v_add_f64_e32 v[0:1], v[0:1], v[198:199]
	;; [unrolled: 1-line block ×3, first 2 shown]
	v_dual_mov_b32 v199, v29 :: v_dual_mov_b32 v198, v28
	v_mul_f64_e32 v[28:29], s[16:17], v[54:55]
	v_dual_mov_b32 v197, v27 :: v_dual_mov_b32 v196, v26
	v_mul_f64_e32 v[26:27], s[10:11], v[223:224]
	v_add_f64_e32 v[0:1], v[0:1], v[190:191]
	v_add_f64_e32 v[2:3], v[2:3], v[188:189]
	v_dual_mov_b32 v189, v19 :: v_dual_mov_b32 v188, v18
	v_mul_f64_e32 v[18:19], s[22:23], v[223:224]
	v_dual_mov_b32 v191, v21 :: v_dual_mov_b32 v190, v20
	v_mul_f64_e32 v[20:21], s[20:21], v[54:55]
	v_add_f64_e64 v[28:29], v[30:31], -v[28:29]
	v_mul_f64_e32 v[30:31], s[42:43], v[251:252]
	v_add_f64_e32 v[26:27], v[26:27], v[68:69]
	v_dual_mov_b32 v69, v63 :: v_dual_mov_b32 v68, v62
	v_dual_mov_b32 v63, v45 :: v_dual_mov_b32 v62, v44
	v_add_f64_e32 v[0:1], v[0:1], v[174:175]
	v_add_f64_e32 v[2:3], v[2:3], v[172:173]
	v_mul_f64_e32 v[172:173], s[42:43], v[231:232]
	v_mul_f64_e32 v[174:175], s[50:51], v[235:236]
	v_add_f64_e32 v[28:29], v[134:135], v[28:29]
	v_add_f64_e32 v[26:27], v[132:133], v[26:27]
	;; [unrolled: 1-line block ×4, first 2 shown]
	v_mul_f64_e32 v[144:145], s[50:51], v[239:240]
	v_mul_f64_e32 v[146:147], s[34:35], v[245:246]
	s_delay_alu instid0(VALU_DEP_4) | instskip(NEXT) | instid1(VALU_DEP_4)
	v_add_f64_e32 v[0:1], v[0:1], v[142:143]
	v_add_f64_e32 v[2:3], v[2:3], v[140:141]
	v_mul_f64_e32 v[140:141], s[38:39], v[227:228]
	v_mul_f64_e32 v[142:143], s[50:51], v[229:230]
	s_delay_alu instid0(VALU_DEP_4) | instskip(NEXT) | instid1(VALU_DEP_4)
	v_add_f64_e32 v[138:139], v[0:1], v[138:139]
	v_add_f64_e32 v[136:137], v[2:3], v[136:137]
	v_mul_f64_e32 v[0:1], s[42:43], v[54:55]
	scratch_store_b128 off, v[136:139], off offset:580 ; 16-byte Folded Spill
	v_dual_mov_b32 v139, v131 :: v_dual_mov_b32 v138, v130
	v_dual_mov_b32 v137, v129 :: v_dual_mov_b32 v136, v128
	v_mov_b32_e32 v129, v127
	v_dual_mov_b32 v128, v126 :: v_dual_mov_b32 v127, v125
	v_dual_mov_b32 v126, v124 :: v_dual_mov_b32 v125, v5
	v_mov_b32_e32 v124, v4
	v_mul_f64_e32 v[4:5], s[38:39], v[54:55]
	v_fma_f64 v[2:3], v[56:57], s[40:41], v[0:1]
	v_fma_f64 v[0:1], v[56:57], s[40:41], -v[0:1]
	v_dual_mov_b32 v131, v123 :: v_dual_mov_b32 v130, v122
	v_dual_mov_b32 v123, v51 :: v_dual_mov_b32 v122, v50
	;; [unrolled: 1-line block ×3, first 2 shown]
	v_fma_f64 v[6:7], v[56:57], s[36:37], v[4:5]
	v_fma_f64 v[4:5], v[56:57], s[36:37], -v[4:5]
	scratch_load_b64 v[56:57], off, off offset:572 th:TH_LOAD_LU ; 8-byte Folded Reload
	v_add_f64_e32 v[2:3], v[134:135], v[2:3]
	v_add_f64_e32 v[0:1], v[134:135], v[0:1]
	;; [unrolled: 1-line block ×4, first 2 shown]
	s_wait_loadcnt 0x0
	v_add_f64_e32 v[18:19], v[18:19], v[56:57]
	scratch_load_b64 v[56:57], off, off offset:564 th:TH_LOAD_LU ; 8-byte Folded Reload
	v_add_f64_e32 v[18:19], v[132:133], v[18:19]
	s_wait_loadcnt 0x0
	v_add_f64_e64 v[20:21], v[56:57], -v[20:21]
	scratch_load_b64 v[56:57], off, off offset:556 th:TH_LOAD_LU ; 8-byte Folded Reload
	v_add_f64_e32 v[20:21], v[134:135], v[20:21]
	s_wait_loadcnt 0x0
	v_add_f64_e32 v[22:23], v[22:23], v[56:57]
	scratch_load_b64 v[56:57], off, off offset:548 th:TH_LOAD_LU ; 8-byte Folded Reload
	s_clause 0x3
	scratch_store_b64 off, v[34:35], off offset:556
	scratch_store_b64 off, v[48:49], off offset:572
	;; [unrolled: 1-line block ×4, first 2 shown]
	scratch_load_b64 v[54:55], off, off offset:508 th:TH_LOAD_LU ; 8-byte Folded Reload
	v_dual_mov_b32 v49, v33 :: v_dual_mov_b32 v48, v32
	v_mul_f64_e32 v[32:33], s[38:39], v[251:252]
	v_mul_f64_e32 v[34:35], s[34:35], v[251:252]
	;; [unrolled: 1-line block ×3, first 2 shown]
	v_dual_mov_b32 v252, v75 :: v_dual_mov_b32 v251, v74
	v_dual_mov_b32 v75, v47 :: v_dual_mov_b32 v74, v46
	v_mul_f64_e32 v[46:47], s[2:3], v[223:224]
	v_fma_f64 v[38:39], v[223:224], s[40:41], -v[30:31]
	v_fma_f64 v[30:31], v[223:224], s[40:41], v[30:31]
	scratch_store_b64 off, v[42:43], off offset:548 ; 8-byte Folded Spill
	v_add_f64_e32 v[22:23], v[132:133], v[22:23]
	v_fma_f64 v[40:41], v[223:224], s[36:37], -v[32:33]
	v_fma_f64 v[32:33], v[223:224], s[36:37], v[32:33]
	v_fma_f64 v[42:43], v[223:224], s[30:31], -v[34:35]
	v_fma_f64 v[34:35], v[223:224], s[30:31], v[34:35]
	;; [unrolled: 2-line block ×3, first 2 shown]
	v_mul_f64_e32 v[223:224], s[58:59], v[245:246]
	v_add_f64_e32 v[38:39], v[132:133], v[38:39]
	v_add_f64_e32 v[30:31], v[132:133], v[30:31]
	;; [unrolled: 1-line block ×8, first 2 shown]
	s_wait_loadcnt 0x1
	v_add_f64_e64 v[24:25], v[56:57], -v[24:25]
	s_wait_loadcnt 0x0
	v_add_f64_e32 v[46:47], v[46:47], v[54:55]
	v_mul_f64_e32 v[54:55], s[52:53], v[209:210]
	s_delay_alu instid0(VALU_DEP_3) | instskip(NEXT) | instid1(VALU_DEP_3)
	v_add_f64_e32 v[24:25], v[134:135], v[24:25]
	v_add_f64_e32 v[46:47], v[132:133], v[46:47]
	s_delay_alu instid0(VALU_DEP_3) | instskip(NEXT) | instid1(VALU_DEP_1)
	v_fma_f64 v[56:57], v[213:214], s[2:3], v[54:55]
	v_add_f64_e32 v[2:3], v[56:57], v[2:3]
	v_mul_f64_e32 v[56:57], s[52:53], v[215:216]
	s_delay_alu instid0(VALU_DEP_1) | instskip(NEXT) | instid1(VALU_DEP_1)
	v_fma_f64 v[58:59], v[200:201], s[2:3], -v[56:57]
	v_add_f64_e32 v[38:39], v[58:59], v[38:39]
	v_mul_f64_e32 v[58:59], s[38:39], v[221:222]
	s_delay_alu instid0(VALU_DEP_1) | instskip(NEXT) | instid1(VALU_DEP_1)
	v_fma_f64 v[132:133], v[225:226], s[36:37], v[58:59]
	v_add_f64_e32 v[2:3], v[132:133], v[2:3]
	v_fma_f64 v[132:133], v[205:206], s[36:37], -v[140:141]
	s_delay_alu instid0(VALU_DEP_1) | instskip(SKIP_1) | instid1(VALU_DEP_1)
	v_add_f64_e32 v[38:39], v[132:133], v[38:39]
	v_fma_f64 v[132:133], v[237:238], s[10:11], v[142:143]
	v_add_f64_e32 v[2:3], v[132:133], v[2:3]
	v_fma_f64 v[132:133], v[217:218], s[10:11], -v[144:145]
	s_delay_alu instid0(VALU_DEP_1) | instskip(SKIP_1) | instid1(VALU_DEP_1)
	v_add_f64_e32 v[38:39], v[132:133], v[38:39]
	;; [unrolled: 5-line block ×5, first 2 shown]
	v_fma_f64 v[132:133], v[112:113], s[22:23], v[158:159]
	v_add_f64_e32 v[134:135], v[132:133], v[2:3]
	v_mul_f64_e32 v[2:3], s[58:59], v[52:53]
	s_delay_alu instid0(VALU_DEP_1) | instskip(SKIP_1) | instid1(VALU_DEP_2)
	v_fma_f64 v[132:133], v[211:212], s[22:23], -v[2:3]
	v_fma_f64 v[2:3], v[211:212], s[22:23], v[2:3]
	v_add_f64_e32 v[132:133], v[132:133], v[38:39]
	v_fma_f64 v[38:39], v[213:214], s[2:3], -v[54:55]
	s_delay_alu instid0(VALU_DEP_1) | instskip(SKIP_1) | instid1(VALU_DEP_1)
	v_add_f64_e32 v[0:1], v[38:39], v[0:1]
	v_fma_f64 v[38:39], v[200:201], s[2:3], v[56:57]
	v_add_f64_e32 v[30:31], v[38:39], v[30:31]
	v_fma_f64 v[38:39], v[225:226], s[36:37], -v[58:59]
	s_delay_alu instid0(VALU_DEP_1) | instskip(SKIP_1) | instid1(VALU_DEP_1)
	v_add_f64_e32 v[0:1], v[38:39], v[0:1]
	v_fma_f64 v[38:39], v[205:206], s[36:37], v[140:141]
	v_add_f64_e32 v[30:31], v[38:39], v[30:31]
	v_fma_f64 v[38:39], v[237:238], s[10:11], -v[142:143]
	s_delay_alu instid0(VALU_DEP_1) | instskip(SKIP_2) | instid1(VALU_DEP_2)
	v_add_f64_e32 v[0:1], v[38:39], v[0:1]
	v_fma_f64 v[38:39], v[217:218], s[10:11], v[144:145]
	v_mul_f64_e32 v[144:145], s[46:47], v[245:246]
	v_add_f64_e32 v[30:31], v[38:39], v[30:31]
	v_fma_f64 v[38:39], v[253:254], s[30:31], -v[146:147]
	v_mul_f64_e32 v[146:147], s[42:43], v[229:230]
	s_delay_alu instid0(VALU_DEP_4) | instskip(NEXT) | instid1(VALU_DEP_3)
	v_add_f64_e64 v[144:145], v[160:161], -v[144:145]
	v_add_f64_e32 v[0:1], v[38:39], v[0:1]
	v_fma_f64 v[38:39], v[233:234], s[30:31], v[148:149]
	v_mul_f64_e32 v[148:149], s[34:35], v[221:222]
	v_add_f64_e64 v[146:147], v[96:97], -v[146:147]
	s_delay_alu instid0(VALU_DEP_3) | instskip(SKIP_3) | instid1(VALU_DEP_3)
	v_add_f64_e32 v[30:31], v[38:39], v[30:31]
	v_fma_f64 v[38:39], v[207:208], s[18:19], -v[150:151]
	v_mul_f64_e32 v[150:151], s[24:25], v[209:210]
	v_add_f64_e64 v[148:149], v[86:87], -v[148:149]
	v_add_f64_e32 v[0:1], v[38:39], v[0:1]
	v_fma_f64 v[38:39], v[241:242], s[18:19], v[152:153]
	s_delay_alu instid0(VALU_DEP_4) | instskip(SKIP_1) | instid1(VALU_DEP_3)
	v_add_f64_e64 v[150:151], v[82:83], -v[150:151]
	v_mul_f64_e32 v[152:153], s[26:27], v[241:242]
	v_add_f64_e32 v[30:31], v[38:39], v[30:31]
	v_fma_f64 v[38:39], v[243:244], s[26:27], -v[154:155]
	s_delay_alu instid0(VALU_DEP_4)
	v_add_f64_e32 v[24:25], v[150:151], v[24:25]
	v_mul_f64_e32 v[150:151], s[40:41], v[217:218]
	v_mul_f64_e32 v[154:155], s[36:37], v[233:234]
	v_add_f64_e32 v[152:153], v[152:153], v[106:107]
	v_add_f64_e32 v[0:1], v[38:39], v[0:1]
	v_fma_f64 v[38:39], v[249:250], s[26:27], v[156:157]
	v_mul_f64_e32 v[156:157], s[22:23], v[200:201]
	v_add_f64_e32 v[150:151], v[150:151], v[80:81]
	v_add_f64_e32 v[24:25], v[148:149], v[24:25]
	;; [unrolled: 1-line block ×3, first 2 shown]
	v_mul_f64_e32 v[148:149], s[48:49], v[235:236]
	v_add_f64_e32 v[30:31], v[38:39], v[30:31]
	v_fma_f64 v[38:39], v[112:113], s[22:23], -v[158:159]
	v_add_f64_e32 v[156:157], v[156:157], v[76:77]
	v_mul_f64_e32 v[158:159], s[30:31], v[205:206]
	v_add_f64_e32 v[24:25], v[146:147], v[24:25]
	v_mul_f64_e32 v[146:147], s[18:19], v[249:250]
	v_add_f64_e64 v[148:149], v[100:101], -v[148:149]
	v_add_f64_e32 v[54:55], v[2:3], v[30:31]
	v_add_f64_e32 v[56:57], v[38:39], v[0:1]
	v_mul_f64_e32 v[0:1], s[48:49], v[209:210]
	v_mul_f64_e32 v[38:39], s[24:25], v[221:222]
	v_add_f64_e32 v[158:159], v[158:159], v[78:79]
	v_add_f64_e32 v[26:27], v[156:157], v[26:27]
	;; [unrolled: 1-line block ×4, first 2 shown]
	v_mul_f64_e32 v[144:145], s[52:53], v[219:220]
	v_mul_f64_e32 v[156:157], s[30:31], v[200:201]
	v_fma_f64 v[2:3], v[213:214], s[18:19], v[0:1]
	v_fma_f64 v[0:1], v[213:214], s[18:19], -v[0:1]
	v_add_f64_e32 v[26:27], v[158:159], v[26:27]
	v_mul_f64_e32 v[158:159], s[40:41], v[205:206]
	v_add_f64_e64 v[144:145], v[108:109], -v[144:145]
	v_add_f64_e32 v[156:157], v[156:157], v[84:85]
	v_add_f64_e32 v[2:3], v[2:3], v[6:7]
	v_mul_f64_e32 v[6:7], s[48:49], v[215:216]
	v_add_f64_e32 v[0:1], v[0:1], v[4:5]
	v_add_f64_e32 v[26:27], v[150:151], v[26:27]
	v_mul_f64_e32 v[150:151], s[34:35], v[209:210]
	;; [unrolled: 3-line block ×3, first 2 shown]
	v_fma_f64 v[30:31], v[200:201], s[18:19], -v[6:7]
	v_fma_f64 v[4:5], v[200:201], s[18:19], v[6:7]
	v_add_f64_e32 v[26:27], v[154:155], v[26:27]
	v_add_f64_e64 v[150:151], v[102:103], -v[150:151]
	v_mul_f64_e32 v[154:155], s[10:11], v[233:234]
	v_fma_f64 v[6:7], v[225:226], s[22:23], -v[38:39]
	v_add_f64_e32 v[22:23], v[158:159], v[22:23]
	v_add_f64_e32 v[156:157], v[156:157], v[104:105]
	v_mul_f64_e32 v[158:159], s[26:27], v[205:206]
	v_add_f64_e32 v[30:31], v[30:31], v[40:41]
	v_fma_f64 v[40:41], v[225:226], s[22:23], v[38:39]
	v_add_f64_e32 v[26:27], v[152:153], v[26:27]
	v_add_f64_e32 v[20:21], v[150:151], v[20:21]
	v_mul_f64_e32 v[150:151], s[26:27], v[217:218]
	v_mul_f64_e32 v[152:153], s[2:3], v[241:242]
	v_add_f64_e32 v[154:155], v[154:155], v[192:193]
	v_add_f64_e32 v[18:19], v[156:157], v[18:19]
	;; [unrolled: 1-line block ×5, first 2 shown]
	v_mul_f64_e32 v[182:183], s[58:59], v[202:203]
	v_mul_f64_e32 v[192:193], s[44:45], v[215:216]
	v_add_f64_e32 v[2:3], v[40:41], v[2:3]
	v_mul_f64_e32 v[40:41], s[24:25], v[227:228]
	v_add_f64_e32 v[26:27], v[146:147], v[26:27]
	v_add_f64_e32 v[150:151], v[150:151], v[98:99]
	v_add_f64_e32 v[152:153], v[152:153], v[110:111]
	v_add_f64_e32 v[18:19], v[158:159], v[18:19]
	v_fma_f64 v[58:59], v[205:206], s[22:23], -v[40:41]
	v_fma_f64 v[6:7], v[205:206], s[22:23], v[40:41]
	v_add_f64_e32 v[22:23], v[150:151], v[22:23]
	s_delay_alu instid0(VALU_DEP_3) | instskip(SKIP_1) | instid1(VALU_DEP_3)
	v_add_f64_e32 v[30:31], v[58:59], v[30:31]
	v_mul_f64_e32 v[58:59], s[56:57], v[229:230]
	v_add_f64_e32 v[22:23], v[154:155], v[22:23]
	v_mul_f64_e32 v[154:155], s[36:37], v[241:242]
	v_add_f64_e32 v[4:5], v[6:7], v[4:5]
	s_delay_alu instid0(VALU_DEP_4) | instskip(NEXT) | instid1(VALU_DEP_4)
	v_fma_f64 v[140:141], v[237:238], s[30:31], v[58:59]
	v_add_f64_e32 v[22:23], v[152:153], v[22:23]
	v_mul_f64_e32 v[152:153], s[42:43], v[209:210]
	v_add_f64_e32 v[154:155], v[154:155], v[60:61]
	v_fma_f64 v[6:7], v[237:238], s[30:31], -v[58:59]
	v_add_f64_e32 v[2:3], v[140:141], v[2:3]
	v_fma_f64 v[140:141], v[217:218], s[30:31], -v[164:165]
	v_add_f64_e64 v[152:153], v[188:189], -v[152:153]
	v_mul_f64_e32 v[188:189], s[16:17], v[114:115]
	v_add_f64_e32 v[0:1], v[6:7], v[0:1]
	v_fma_f64 v[6:7], v[217:218], s[30:31], v[164:165]
	v_mul_f64_e32 v[114:115], s[42:43], v[114:115]
	v_add_f64_e32 v[30:31], v[140:141], v[30:31]
	v_fma_f64 v[140:141], v[253:254], s[2:3], v[166:167]
	v_add_f64_e32 v[16:17], v[152:153], v[16:17]
	v_mul_f64_e32 v[152:153], s[2:3], v[217:218]
	v_add_f64_e32 v[4:5], v[6:7], v[4:5]
	v_fma_f64 v[6:7], v[253:254], s[2:3], -v[166:167]
	v_add_f64_e32 v[2:3], v[140:141], v[2:3]
	v_fma_f64 v[140:141], v[233:234], s[2:3], -v[168:169]
	v_add_f64_e32 v[152:153], v[152:153], v[186:187]
	v_mul_f64_e32 v[186:187], s[16:17], v[235:236]
	v_add_f64_e32 v[0:1], v[6:7], v[0:1]
	v_fma_f64 v[6:7], v[233:234], s[2:3], v[168:169]
	v_add_f64_e32 v[30:31], v[140:141], v[30:31]
	v_fma_f64 v[140:141], v[207:208], s[40:41], v[170:171]
	v_add_f64_e32 v[18:19], v[152:153], v[18:19]
	s_delay_alu instid0(VALU_DEP_4) | instskip(SKIP_1) | instid1(VALU_DEP_4)
	v_add_f64_e32 v[4:5], v[6:7], v[4:5]
	v_fma_f64 v[6:7], v[207:208], s[40:41], -v[170:171]
	v_add_f64_e32 v[2:3], v[140:141], v[2:3]
	v_fma_f64 v[140:141], v[241:242], s[40:41], -v[172:173]
	s_delay_alu instid0(VALU_DEP_3) | instskip(SKIP_1) | instid1(VALU_DEP_3)
	v_add_f64_e32 v[0:1], v[6:7], v[0:1]
	v_fma_f64 v[6:7], v[241:242], s[40:41], v[172:173]
	v_add_f64_e32 v[30:31], v[140:141], v[30:31]
	v_fma_f64 v[140:141], v[243:244], s[10:11], v[174:175]
	s_delay_alu instid0(VALU_DEP_3) | instskip(SKIP_1) | instid1(VALU_DEP_3)
	v_add_f64_e32 v[4:5], v[6:7], v[4:5]
	v_fma_f64 v[6:7], v[243:244], s[10:11], -v[174:175]
	v_add_f64_e32 v[2:3], v[140:141], v[2:3]
	v_fma_f64 v[140:141], v[249:250], s[10:11], -v[176:177]
	s_delay_alu instid0(VALU_DEP_3) | instskip(SKIP_1) | instid1(VALU_DEP_3)
	v_add_f64_e32 v[0:1], v[6:7], v[0:1]
	v_fma_f64 v[6:7], v[249:250], s[10:11], v[176:177]
	v_add_f64_e32 v[30:31], v[140:141], v[30:31]
	v_fma_f64 v[140:141], v[112:113], s[26:27], v[178:179]
	s_delay_alu instid0(VALU_DEP_3) | instskip(SKIP_1) | instid1(VALU_DEP_3)
	v_add_f64_e32 v[4:5], v[6:7], v[4:5]
	v_fma_f64 v[6:7], v[112:113], s[26:27], -v[178:179]
	v_add_f64_e32 v[142:143], v[140:141], v[2:3]
	v_mul_f64_e32 v[2:3], s[28:29], v[52:53]
	s_delay_alu instid0(VALU_DEP_3) | instskip(NEXT) | instid1(VALU_DEP_2)
	v_add_f64_e32 v[166:167], v[6:7], v[0:1]
	v_fma_f64 v[140:141], v[211:212], s[26:27], -v[2:3]
	v_fma_f64 v[2:3], v[211:212], s[26:27], v[2:3]
	s_delay_alu instid0(VALU_DEP_2) | instskip(SKIP_1) | instid1(VALU_DEP_3)
	v_add_f64_e32 v[140:141], v[140:141], v[30:31]
	v_mul_f64_e32 v[30:31], s[44:45], v[202:203]
	v_add_f64_e32 v[164:165], v[2:3], v[4:5]
	v_fma_f64 v[2:3], v[200:201], s[26:27], -v[192:193]
	s_delay_alu instid0(VALU_DEP_3) | instskip(SKIP_1) | instid1(VALU_DEP_3)
	v_add_f64_e64 v[30:31], v[194:195], -v[30:31]
	v_mul_f64_e32 v[194:195], s[16:17], v[221:222]
	v_add_f64_e32 v[2:3], v[2:3], v[42:43]
	s_delay_alu instid0(VALU_DEP_3) | instskip(SKIP_1) | instid1(VALU_DEP_4)
	v_add_f64_e32 v[24:25], v[30:31], v[24:25]
	v_mul_f64_e32 v[30:31], s[2:3], v[211:212]
	v_fma_f64 v[4:5], v[225:226], s[2:3], v[194:195]
	s_delay_alu instid0(VALU_DEP_3) | instskip(NEXT) | instid1(VALU_DEP_3)
	v_add_f64_e32 v[24:25], v[148:149], v[24:25]
	v_add_f64_e32 v[30:31], v[30:31], v[90:91]
	v_mul_f64_e32 v[148:149], s[54:55], v[221:222]
	s_delay_alu instid0(VALU_DEP_3) | instskip(NEXT) | instid1(VALU_DEP_3)
	v_add_f64_e32 v[146:147], v[144:145], v[24:25]
	v_add_f64_e32 v[144:145], v[30:31], v[26:27]
	v_mul_f64_e32 v[30:31], s[44:45], v[229:230]
	s_delay_alu instid0(VALU_DEP_4)
	v_add_f64_e64 v[148:149], v[180:181], -v[148:149]
	v_mul_f64_e32 v[26:27], s[50:51], v[245:246]
	v_mul_f64_e32 v[24:25], s[16:17], v[202:203]
	v_mul_f64_e32 v[180:181], s[42:43], v[247:248]
	v_add_f64_e64 v[30:31], v[196:197], -v[30:31]
	v_add_f64_e32 v[20:21], v[148:149], v[20:21]
	v_add_f64_e64 v[26:27], v[118:119], -v[26:27]
	v_add_f64_e64 v[24:25], v[130:131], -v[24:25]
	v_mul_f64_e32 v[148:149], s[24:25], v[235:236]
	v_mul_f64_e32 v[196:197], s[16:17], v[227:228]
	v_add_f64_e32 v[20:21], v[30:31], v[20:21]
	v_mul_f64_e32 v[30:31], s[22:23], v[249:250]
	s_delay_alu instid0(VALU_DEP_4) | instskip(SKIP_1) | instid1(VALU_DEP_4)
	v_add_f64_e64 v[148:149], v[198:199], -v[148:149]
	v_mul_f64_e32 v[198:199], s[38:39], v[229:230]
	v_add_f64_e32 v[20:21], v[26:27], v[20:21]
	s_delay_alu instid0(VALU_DEP_4)
	v_add_f64_e32 v[30:31], v[30:31], v[184:185]
	v_mul_f64_e32 v[26:27], s[38:39], v[219:220]
	v_mul_f64_e32 v[184:185], s[58:59], v[231:232]
	;; [unrolled: 1-line block ×3, first 2 shown]
	v_add_f64_e32 v[20:21], v[24:25], v[20:21]
	v_mul_f64_e32 v[24:25], s[36:37], v[211:212]
	v_add_f64_e64 v[26:27], v[48:49], -v[26:27]
	v_add_f64_e32 v[22:23], v[30:31], v[22:23]
	v_mul_f64_e32 v[30:31], s[44:45], v[221:222]
	v_add_f64_e32 v[20:21], v[148:149], v[20:21]
	v_add_f64_e32 v[24:25], v[24:25], v[162:163]
	s_delay_alu instid0(VALU_DEP_3) | instskip(SKIP_1) | instid1(VALU_DEP_4)
	v_add_f64_e64 v[30:31], v[251:252], -v[30:31]
	v_mul_f64_e32 v[251:252], s[48:49], v[219:220]
	v_add_f64_e32 v[150:151], v[26:27], v[20:21]
	v_mul_f64_e32 v[26:27], s[52:53], v[229:230]
	v_add_f64_e32 v[148:149], v[24:25], v[22:23]
	;; [unrolled: 2-line block ×3, first 2 shown]
	v_mul_f64_e32 v[22:23], s[38:39], v[202:203]
	v_mul_f64_e32 v[30:31], s[18:19], v[233:234]
	;; [unrolled: 1-line block ×3, first 2 shown]
	v_add_f64_e64 v[26:27], v[64:65], -v[26:27]
	v_add_f64_e64 v[24:25], v[120:121], -v[24:25]
	;; [unrolled: 1-line block ×3, first 2 shown]
	v_add_f64_e32 v[30:31], v[30:31], v[190:191]
	v_add_f64_e64 v[20:21], v[66:67], -v[20:21]
	v_mul_f64_e32 v[190:191], s[34:35], v[219:220]
	v_add_f64_e32 v[16:17], v[26:27], v[16:17]
	v_mul_f64_e32 v[26:27], s[30:31], v[249:250]
	v_add_f64_e32 v[18:19], v[30:31], v[18:19]
	s_delay_alu instid0(VALU_DEP_3) | instskip(SKIP_1) | instid1(VALU_DEP_4)
	v_add_f64_e32 v[16:17], v[24:25], v[16:17]
	v_mul_f64_e32 v[24:25], s[50:51], v[219:220]
	v_add_f64_e32 v[26:27], v[26:27], v[116:117]
	s_delay_alu instid0(VALU_DEP_4) | instskip(NEXT) | instid1(VALU_DEP_4)
	v_add_f64_e32 v[18:19], v[154:155], v[18:19]
	v_add_f64_e32 v[16:17], v[22:23], v[16:17]
	s_delay_alu instid0(VALU_DEP_4)
	v_add_f64_e64 v[24:25], v[124:125], -v[24:25]
	v_mul_f64_e32 v[22:23], s[10:11], v[211:212]
	v_mov_b32_e32 v124, v126
	v_dual_mov_b32 v125, v127 :: v_dual_mov_b32 v126, v128
	v_add_f64_e32 v[18:19], v[26:27], v[18:19]
	v_dual_mov_b32 v127, v129 :: v_dual_mov_b32 v128, v136
	v_dual_mov_b32 v129, v137 :: v_dual_mov_b32 v130, v138
	v_mov_b32_e32 v131, v139
	v_add_f64_e32 v[16:17], v[20:21], v[16:17]
	v_add_f64_e32 v[22:23], v[22:23], v[70:71]
	s_delay_alu instid0(VALU_DEP_2) | instskip(SKIP_1) | instid1(VALU_DEP_3)
	v_add_f64_e32 v[154:155], v[24:25], v[16:17]
	v_mul_f64_e32 v[16:17], s[46:47], v[209:210]
	v_add_f64_e32 v[152:153], v[22:23], v[18:19]
	v_mul_f64_e32 v[22:23], s[50:51], v[221:222]
	s_delay_alu instid0(VALU_DEP_3) | instskip(NEXT) | instid1(VALU_DEP_2)
	v_fma_f64 v[18:19], v[213:214], s[36:37], -v[16:17]
	v_fma_f64 v[24:25], v[225:226], s[10:11], -v[22:23]
	s_delay_alu instid0(VALU_DEP_2) | instskip(SKIP_2) | instid1(VALU_DEP_3)
	v_add_f64_e32 v[12:13], v[18:19], v[12:13]
	v_mul_f64_e32 v[18:19], s[46:47], v[215:216]
	v_mul_f64_e32 v[215:216], s[38:39], v[239:240]
	v_add_f64_e32 v[12:13], v[24:25], v[12:13]
	s_delay_alu instid0(VALU_DEP_3) | instskip(SKIP_3) | instid1(VALU_DEP_4)
	v_fma_f64 v[20:21], v[200:201], s[36:37], v[18:19]
	v_mul_f64_e32 v[24:25], s[50:51], v[227:228]
	v_mul_f64_e32 v[227:228], s[58:59], v[247:248]
	;; [unrolled: 1-line block ×3, first 2 shown]
	v_add_f64_e32 v[20:21], v[20:21], v[36:37]
	s_delay_alu instid0(VALU_DEP_4) | instskip(NEXT) | instid1(VALU_DEP_1)
	v_fma_f64 v[26:27], v[205:206], s[10:11], v[24:25]
	v_add_f64_e32 v[20:21], v[26:27], v[20:21]
	v_mul_f64_e32 v[26:27], s[20:21], v[229:230]
	s_delay_alu instid0(VALU_DEP_1) | instskip(NEXT) | instid1(VALU_DEP_1)
	v_fma_f64 v[30:31], v[237:238], s[18:19], -v[26:27]
	v_add_f64_e32 v[12:13], v[30:31], v[12:13]
	v_mul_f64_e32 v[30:31], s[20:21], v[239:240]
	v_mul_f64_e32 v[239:240], s[14:15], v[202:203]
	s_delay_alu instid0(VALU_DEP_2) | instskip(NEXT) | instid1(VALU_DEP_1)
	v_fma_f64 v[36:37], v[217:218], s[18:19], v[30:31]
	v_add_f64_e32 v[20:21], v[36:37], v[20:21]
	v_mul_f64_e32 v[36:37], s[42:43], v[245:246]
	s_delay_alu instid0(VALU_DEP_1) | instskip(NEXT) | instid1(VALU_DEP_1)
	v_fma_f64 v[156:157], v[253:254], s[40:41], -v[36:37]
	v_add_f64_e32 v[12:13], v[156:157], v[12:13]
	v_fma_f64 v[156:157], v[233:234], s[40:41], v[180:181]
	s_delay_alu instid0(VALU_DEP_1) | instskip(SKIP_1) | instid1(VALU_DEP_1)
	v_add_f64_e32 v[20:21], v[156:157], v[20:21]
	v_fma_f64 v[156:157], v[207:208], s[22:23], -v[182:183]
	v_add_f64_e32 v[12:13], v[156:157], v[12:13]
	v_fma_f64 v[156:157], v[241:242], s[22:23], v[184:185]
	s_delay_alu instid0(VALU_DEP_1) | instskip(SKIP_1) | instid1(VALU_DEP_1)
	v_add_f64_e32 v[20:21], v[156:157], v[20:21]
	;; [unrolled: 5-line block ×3, first 2 shown]
	v_fma_f64 v[156:157], v[112:113], s[30:31], -v[190:191]
	v_add_f64_e32 v[158:159], v[156:157], v[12:13]
	v_mul_f64_e32 v[12:13], s[34:35], v[52:53]
	v_mul_f64_e32 v[52:53], s[48:49], v[52:53]
	s_delay_alu instid0(VALU_DEP_2) | instskip(NEXT) | instid1(VALU_DEP_2)
	v_fma_f64 v[156:157], v[211:212], s[30:31], v[12:13]
	v_fma_f64 v[6:7], v[211:212], s[18:19], -v[52:53]
	s_delay_alu instid0(VALU_DEP_2) | instskip(SKIP_1) | instid1(VALU_DEP_1)
	v_add_f64_e32 v[156:157], v[156:157], v[20:21]
	v_mul_f64_e32 v[20:21], s[44:45], v[209:210]
	v_fma_f64 v[0:1], v[213:214], s[26:27], v[20:21]
	v_fma_f64 v[160:161], v[213:214], s[26:27], -v[20:21]
	scratch_load_b64 v[20:21], off, off offset:540 th:TH_LOAD_LU ; 8-byte Folded Reload
	v_add_f64_e32 v[0:1], v[0:1], v[10:11]
	v_add_f64_e32 v[8:9], v[160:161], v[8:9]
	v_fma_f64 v[160:161], v[200:201], s[26:27], v[192:193]
	v_fma_f64 v[10:11], v[112:113], s[30:31], v[190:191]
	s_delay_alu instid0(VALU_DEP_4) | instskip(SKIP_1) | instid1(VALU_DEP_4)
	v_add_f64_e32 v[0:1], v[4:5], v[0:1]
	v_fma_f64 v[4:5], v[205:206], s[2:3], -v[196:197]
	v_add_f64_e32 v[34:35], v[160:161], v[34:35]
	v_fma_f64 v[160:161], v[225:226], s[2:3], -v[194:195]
	s_delay_alu instid0(VALU_DEP_3) | instskip(SKIP_1) | instid1(VALU_DEP_3)
	v_add_f64_e32 v[2:3], v[4:5], v[2:3]
	v_fma_f64 v[4:5], v[237:238], s[36:37], v[198:199]
	v_add_f64_e32 v[8:9], v[160:161], v[8:9]
	v_fma_f64 v[160:161], v[205:206], s[2:3], v[196:197]
	s_delay_alu instid0(VALU_DEP_3) | instskip(SKIP_1) | instid1(VALU_DEP_3)
	v_add_f64_e32 v[0:1], v[4:5], v[0:1]
	v_fma_f64 v[4:5], v[217:218], s[36:37], -v[215:216]
	v_add_f64_e32 v[34:35], v[160:161], v[34:35]
	v_fma_f64 v[160:161], v[237:238], s[36:37], -v[198:199]
	s_delay_alu instid0(VALU_DEP_3) | instskip(SKIP_1) | instid1(VALU_DEP_3)
	v_add_f64_e32 v[2:3], v[4:5], v[2:3]
	v_fma_f64 v[4:5], v[253:254], s[22:23], v[223:224]
	v_add_f64_e32 v[8:9], v[160:161], v[8:9]
	v_fma_f64 v[160:161], v[217:218], s[36:37], v[215:216]
	s_delay_alu instid0(VALU_DEP_3) | instskip(SKIP_1) | instid1(VALU_DEP_3)
	;; [unrolled: 10-line block ×4, first 2 shown]
	v_add_f64_e32 v[0:1], v[4:5], v[0:1]
	v_fma_f64 v[4:5], v[249:250], s[40:41], -v[114:115]
	v_add_f64_e32 v[34:35], v[160:161], v[34:35]
	v_fma_f64 v[160:161], v[243:244], s[40:41], -v[247:248]
	s_delay_alu instid0(VALU_DEP_3) | instskip(SKIP_1) | instid1(VALU_DEP_3)
	v_add_f64_e32 v[2:3], v[4:5], v[2:3]
	v_fma_f64 v[4:5], v[112:113], s[18:19], v[251:252]
	v_add_f64_e32 v[8:9], v[160:161], v[8:9]
	v_fma_f64 v[160:161], v[249:250], s[40:41], v[114:115]
	s_delay_alu instid0(VALU_DEP_4) | instskip(NEXT) | instid1(VALU_DEP_4)
	v_add_f64_e32 v[168:169], v[6:7], v[2:3]
	v_add_f64_e32 v[170:171], v[4:5], v[0:1]
	v_fma_f64 v[0:1], v[213:214], s[36:37], v[16:17]
	s_delay_alu instid0(VALU_DEP_4)
	v_add_f64_e32 v[34:35], v[160:161], v[34:35]
	v_fma_f64 v[160:161], v[112:113], s[18:19], -v[251:252]
	v_fma_f64 v[6:7], v[225:226], s[10:11], v[22:23]
	v_fma_f64 v[4:5], v[237:238], s[18:19], v[26:27]
	;; [unrolled: 1-line block ×4, first 2 shown]
	v_add_f64_e32 v[0:1], v[0:1], v[14:15]
	v_fma_f64 v[14:15], v[200:201], s[36:37], -v[18:19]
	v_add_f64_e32 v[162:163], v[160:161], v[8:9]
	v_fma_f64 v[8:9], v[211:212], s[18:19], v[52:53]
	scratch_load_b64 v[18:19], off, off offset:596 th:TH_LOAD_LU ; 8-byte Folded Reload
	v_add_f64_e32 v[0:1], v[6:7], v[0:1]
	v_add_f64_e32 v[14:15], v[14:15], v[44:45]
	v_fma_f64 v[6:7], v[205:206], s[10:11], -v[24:25]
	v_add_f64_e32 v[160:161], v[8:9], v[34:35]
	v_fma_f64 v[8:9], v[253:254], s[40:41], v[36:37]
	v_add_f64_e32 v[0:1], v[4:5], v[0:1]
	v_fma_f64 v[4:5], v[217:218], s[18:19], -v[30:31]
	v_add_f64_e32 v[6:7], v[6:7], v[14:15]
	v_mul_f64_e32 v[14:15], s[10:11], v[200:201]
	s_delay_alu instid0(VALU_DEP_4)
	v_add_f64_e32 v[0:1], v[8:9], v[0:1]
	scratch_load_b64 v[8:9], off, off offset:524 th:TH_LOAD_LU ; 8-byte Folded Reload
	v_add_f64_e32 v[4:5], v[4:5], v[6:7]
	v_fma_f64 v[6:7], v[233:234], s[40:41], -v[180:181]
	v_add_f64_e32 v[0:1], v[16:17], v[0:1]
	scratch_load_b64 v[16:17], off, off offset:532 th:TH_LOAD_LU ; 8-byte Folded Reload
	v_add_f64_e32 v[4:5], v[6:7], v[4:5]
	v_fma_f64 v[6:7], v[241:242], s[22:23], -v[184:185]
	v_add_f64_e32 v[0:1], v[2:3], v[0:1]
	v_fma_f64 v[2:3], v[249:250], s[2:3], -v[188:189]
	s_delay_alu instid0(VALU_DEP_3) | instskip(SKIP_1) | instid1(VALU_DEP_4)
	v_add_f64_e32 v[4:5], v[6:7], v[4:5]
	v_mul_f64_e32 v[6:7], s[20:21], v[221:222]
	v_add_f64_e32 v[114:115], v[10:11], v[0:1]
	scratch_load_b64 v[10:11], off, off offset:516 th:TH_LOAD_LU ; 8-byte Folded Reload
	v_mul_f64_e32 v[0:1], s[34:35], v[202:203]
	v_add_f64_e32 v[2:3], v[2:3], v[4:5]
	v_fma_f64 v[4:5], v[211:212], s[30:31], -v[12:13]
	scratch_load_b64 v[12:13], off, off offset:572 th:TH_LOAD_LU ; 8-byte Folded Reload
	v_add_f64_e64 v[0:1], v[50:51], -v[0:1]
	v_add_f64_e32 v[112:113], v[4:5], v[2:3]
	v_mul_f64_e32 v[4:5], s[24:25], v[229:230]
	v_mul_f64_e32 v[2:3], s[28:29], v[245:246]
	s_delay_alu instid0(VALU_DEP_2) | instskip(NEXT) | instid1(VALU_DEP_2)
	v_add_f64_e64 v[4:5], v[62:63], -v[4:5]
	v_add_f64_e64 v[2:3], v[122:123], -v[2:3]
	s_wait_loadcnt 0x3
	v_add_f64_e64 v[6:7], v[8:9], -v[6:7]
	v_mul_f64_e32 v[8:9], s[14:15], v[209:210]
	s_wait_loadcnt 0x2
	v_add_f64_e32 v[14:15], v[14:15], v[16:17]
	v_mul_f64_e32 v[16:17], s[18:19], v[205:206]
	s_delay_alu instid0(VALU_DEP_2) | instskip(NEXT) | instid1(VALU_DEP_2)
	v_add_f64_e32 v[14:15], v[14:15], v[46:47]
	v_add_f64_e32 v[16:17], v[16:17], v[18:19]
	v_mul_f64_e32 v[18:19], s[22:23], v[217:218]
	s_wait_loadcnt 0x1
	v_add_f64_e64 v[8:9], v[10:11], -v[8:9]
	v_mul_f64_e32 v[10:11], s[30:31], v[241:242]
	s_delay_alu instid0(VALU_DEP_3) | instskip(NEXT) | instid1(VALU_DEP_3)
	v_add_f64_e32 v[18:19], v[18:19], v[20:21]
	v_add_f64_e32 v[8:9], v[8:9], v[28:29]
	s_delay_alu instid0(VALU_DEP_1)
	v_add_f64_e32 v[6:7], v[6:7], v[8:9]
	v_add_f64_e32 v[8:9], v[16:17], v[14:15]
	scratch_load_b64 v[16:17], off, off offset:556 th:TH_LOAD_LU ; 8-byte Folded Reload
	s_wait_loadcnt 0x1
	v_add_f64_e32 v[10:11], v[10:11], v[12:13]
	v_mul_f64_e32 v[12:13], s[26:27], v[233:234]
	v_mul_f64_e32 v[14:15], s[38:39], v[235:236]
	v_add_f64_e32 v[4:5], v[4:5], v[6:7]
	v_add_f64_e32 v[6:7], v[18:19], v[8:9]
	v_mul_f64_e32 v[8:9], s[36:37], v[249:250]
	v_add_f64_e32 v[12:13], v[12:13], v[74:75]
	s_delay_alu instid0(VALU_DEP_4) | instskip(NEXT) | instid1(VALU_DEP_2)
	v_add_f64_e32 v[2:3], v[2:3], v[4:5]
	v_add_f64_e32 v[4:5], v[12:13], v[6:7]
	v_mul_f64_e32 v[6:7], s[42:43], v[219:220]
	s_delay_alu instid0(VALU_DEP_3) | instskip(NEXT) | instid1(VALU_DEP_3)
	v_add_f64_e32 v[0:1], v[0:1], v[2:3]
	v_add_f64_e32 v[2:3], v[10:11], v[4:5]
	scratch_load_b64 v[10:11], off, off offset:548 th:TH_LOAD_LU ; 8-byte Folded Reload
	v_add_f64_e64 v[6:7], v[68:69], -v[6:7]
	v_mul_f64_e32 v[4:5], s[40:41], v[211:212]
	s_wait_loadcnt 0x1
	v_add_f64_e64 v[14:15], v[16:17], -v[14:15]
	scratch_load_b64 v[16:17], off, off offset:564 th:TH_LOAD_LU ; 8-byte Folded Reload
	v_add_f64_e32 v[0:1], v[14:15], v[0:1]
	s_delay_alu instid0(VALU_DEP_1)
	v_add_f64_e32 v[174:175], v[6:7], v[0:1]
	scratch_load_b32 v0, off, off           ; 4-byte Folded Reload
	s_wait_loadcnt 0x2
	v_add_f64_e32 v[4:5], v[4:5], v[10:11]
	s_wait_loadcnt 0x1
	v_add_f64_e32 v[8:9], v[8:9], v[16:17]
	s_delay_alu instid0(VALU_DEP_1) | instskip(SKIP_2) | instid1(VALU_DEP_2)
	v_add_f64_e32 v[2:3], v[8:9], v[2:3]
	s_wait_loadcnt 0x0
	v_mul_lo_u16 v0, v0, 17
	v_add_f64_e32 v[172:173], v[4:5], v[2:3]
	s_delay_alu instid0(VALU_DEP_2) | instskip(NEXT) | instid1(VALU_DEP_1)
	v_and_b32_e32 v0, 0xffff, v0
	v_lshlrev_b32_e32 v0, 4, v0
	ds_store_b128 v0, v[144:147] offset:32
	ds_store_b128 v0, v[124:127] offset:224
	scratch_load_b128 v[1:4], off, off offset:44 ; 16-byte Folded Reload
	s_wait_loadcnt 0x0
	ds_store_b128 v0, v[1:4] offset:240
	ds_store_b128 v0, v[148:151] offset:48
	;; [unrolled: 1-line block ×13, first 2 shown]
	scratch_load_b128 v[1:4], off, off offset:580 th:TH_LOAD_LU ; 16-byte Folded Reload
	s_wait_loadcnt 0x0
	ds_store_b128 v0, v[1:4]
	scratch_load_b128 v[1:4], off, off offset:28 ; 16-byte Folded Reload
	s_wait_loadcnt 0x0
	ds_store_b128 v0, v[1:4] offset:256
.LBB0_17:
	s_wait_alu 0xfffe
	s_or_b32 exec_lo, exec_lo, s1
	global_wb scope:SCOPE_SE
	s_wait_storecnt_dscnt 0x0
	s_barrier_signal -1
	s_barrier_wait -1
	global_inv scope:SCOPE_SE
	ds_load_b128 v[132:135], v255 offset:2448
	ds_load_b128 v[140:143], v255
	s_clause 0x1
	scratch_load_b128 v[4:7], off, off offset:60 th:TH_LOAD_LU
	scratch_load_b128 v[8:11], off, off offset:108 th:TH_LOAD_LU
	ds_load_b128 v[52:55], v255 offset:4896
	ds_load_b128 v[12:15], v255 offset:29376
	s_mov_b32 s46, 0x4267c47c
	s_mov_b32 s40, 0x42a4c3d2
	;; [unrolled: 1-line block ×30, first 2 shown]
	s_wait_alu 0xfffe
	s_mov_b32 s18, s46
	s_mov_b32 s38, s40
	;; [unrolled: 1-line block ×6, first 2 shown]
	s_wait_loadcnt_dscnt 0x103
	v_mul_f64_e32 v[0:1], v[6:7], v[134:135]
	v_mul_f64_e32 v[2:3], v[6:7], v[132:133]
	s_delay_alu instid0(VALU_DEP_2) | instskip(NEXT) | instid1(VALU_DEP_2)
	v_fma_f64 v[40:41], v[4:5], v[132:133], v[0:1]
	v_fma_f64 v[42:43], v[4:5], v[134:135], -v[2:3]
	ds_load_b128 v[0:3], v255 offset:7344
	s_wait_loadcnt_dscnt 0x2
	v_mul_f64_e32 v[4:5], v[10:11], v[52:53]
	v_mul_f64_e32 v[6:7], v[10:11], v[54:55]
	s_delay_alu instid0(VALU_DEP_2) | instskip(NEXT) | instid1(VALU_DEP_2)
	v_fma_f64 v[56:57], v[8:9], v[54:55], -v[4:5]
	v_fma_f64 v[58:59], v[8:9], v[52:53], v[6:7]
	scratch_load_b128 v[8:11], off, off offset:76 th:TH_LOAD_LU ; 16-byte Folded Reload
	s_wait_loadcnt_dscnt 0x1
	v_mul_f64_e32 v[4:5], v[10:11], v[12:13]
	v_mul_f64_e32 v[6:7], v[10:11], v[14:15]
	s_delay_alu instid0(VALU_DEP_2) | instskip(NEXT) | instid1(VALU_DEP_2)
	v_fma_f64 v[52:53], v[8:9], v[14:15], -v[4:5]
	v_fma_f64 v[54:55], v[8:9], v[12:13], v[6:7]
	ds_load_b128 v[4:7], v255 offset:26928
	ds_load_b128 v[132:135], v255 offset:24480
	scratch_load_b128 v[14:17], off, off offset:92 th:TH_LOAD_LU ; 16-byte Folded Reload
	v_add_f64_e64 v[160:161], v[40:41], -v[54:55]
	s_wait_loadcnt_dscnt 0x1
	v_mul_f64_e32 v[8:9], v[16:17], v[4:5]
	s_delay_alu instid0(VALU_DEP_1)
	v_fma_f64 v[12:13], v[14:15], v[6:7], -v[8:9]
	v_mul_f64_e32 v[6:7], v[16:17], v[6:7]
	scratch_load_b128 v[16:19], off, off offset:124 th:TH_LOAD_LU ; 16-byte Folded Reload
	v_add_f64_e64 v[192:193], v[56:57], -v[12:13]
	v_fma_f64 v[14:15], v[14:15], v[4:5], v[6:7]
	v_add_f64_e32 v[194:195], v[56:57], v[12:13]
	s_delay_alu instid0(VALU_DEP_3) | instskip(NEXT) | instid1(VALU_DEP_2)
	v_mul_f64_e32 v[241:242], s[24:25], v[192:193]
	v_mul_f64_e32 v[243:244], s[22:23], v[194:195]
	;; [unrolled: 1-line block ×4, first 2 shown]
	s_wait_loadcnt 0x0
	v_mul_f64_e32 v[4:5], v[18:19], v[2:3]
	v_mul_f64_e32 v[6:7], v[18:19], v[0:1]
	scratch_load_b128 v[18:21], off, off offset:140 th:TH_LOAD_LU ; 16-byte Folded Reload
	v_fma_f64 v[112:113], v[16:17], v[0:1], v[4:5]
	v_fma_f64 v[114:115], v[16:17], v[2:3], -v[6:7]
	ds_load_b128 v[0:3], v255 offset:9792
	s_wait_loadcnt_dscnt 0x1
	v_mul_f64_e32 v[8:9], v[20:21], v[134:135]
	v_mul_f64_e32 v[4:5], v[20:21], v[132:133]
	scratch_load_b128 v[20:23], off, off offset:156 th:TH_LOAD_LU ; 16-byte Folded Reload
	v_fma_f64 v[16:17], v[18:19], v[132:133], v[8:9]
	v_fma_f64 v[18:19], v[18:19], v[134:135], -v[4:5]
	ds_load_b128 v[4:7], v255 offset:12240
	v_add_f64_e64 v[200:201], v[112:113], -v[16:17]
	v_add_f64_e64 v[196:197], v[114:115], -v[18:19]
	v_add_f64_e32 v[198:199], v[114:115], v[18:19]
	s_delay_alu instid0(VALU_DEP_2) | instskip(NEXT) | instid1(VALU_DEP_2)
	v_mul_f64_e32 v[245:246], s[26:27], v[196:197]
	v_mul_f64_e32 v[202:203], s[14:15], v[198:199]
	;; [unrolled: 1-line block ×4, first 2 shown]
	s_wait_alu 0xfffe
	v_mul_f64_e32 v[72:73], s[34:35], v[196:197]
	v_mul_f64_e32 v[92:93], s[2:3], v[198:199]
	v_mul_f64_e32 v[88:89], s[18:19], v[196:197]
	v_mul_f64_e32 v[104:105], s[36:37], v[198:199]
	v_fma_f64 v[78:79], v[200:201], s[24:25], v[76:77]
	s_delay_alu instid0(VALU_DEP_4) | instskip(NEXT) | instid1(VALU_DEP_3)
	v_fma_f64 v[94:95], v[200:201], s[46:47], v[92:93]
	v_fma_f64 v[106:107], v[200:201], s[38:39], v[104:105]
	;; [unrolled: 1-line block ×3, first 2 shown]
	s_wait_loadcnt_dscnt 0x1
	v_mul_f64_e32 v[8:9], v[22:23], v[2:3]
	v_mul_f64_e32 v[10:11], v[22:23], v[0:1]
	s_delay_alu instid0(VALU_DEP_2) | instskip(NEXT) | instid1(VALU_DEP_2)
	v_fma_f64 v[132:133], v[20:21], v[0:1], v[8:9]
	v_fma_f64 v[134:135], v[20:21], v[2:3], -v[10:11]
	ds_load_b128 v[0:3], v255 offset:22032
	ds_load_b128 v[8:11], v255 offset:19584
	s_clause 0x3
	scratch_load_b128 v[22:25], off, off offset:172 th:TH_LOAD_LU
	scratch_load_b128 v[44:47], off, off offset:204 th:TH_LOAD_LU
	scratch_load_b128 v[26:29], off, off offset:220 th:TH_LOAD_LU
	scratch_load_b128 v[32:35], off, off offset:236 th:TH_LOAD_LU
	s_wait_loadcnt_dscnt 0x301
	v_mul_f64_e32 v[20:21], v[24:25], v[2:3]
	s_delay_alu instid0(VALU_DEP_1) | instskip(SKIP_3) | instid1(VALU_DEP_3)
	v_fma_f64 v[20:21], v[22:23], v[0:1], v[20:21]
	v_mul_f64_e32 v[0:1], v[24:25], v[0:1]
	s_wait_loadcnt_dscnt 0x0
	v_mul_f64_e32 v[24:25], v[34:35], v[10:11]
	v_add_f64_e32 v[207:208], v[132:133], v[20:21]
	s_delay_alu instid0(VALU_DEP_3)
	v_fma_f64 v[22:23], v[22:23], v[2:3], -v[0:1]
	v_mul_f64_e32 v[0:1], v[28:29], v[6:7]
	v_mul_f64_e32 v[2:3], v[28:29], v[4:5]
	v_fma_f64 v[24:25], v[32:33], v[8:9], v[24:25]
	v_add_f64_e64 v[213:214], v[132:133], -v[20:21]
	v_add_f64_e64 v[205:206], v[134:135], -v[22:23]
	v_fma_f64 v[28:29], v[26:27], v[4:5], v[0:1]
	v_mul_f64_e32 v[4:5], v[34:35], v[8:9]
	v_fma_f64 v[30:31], v[26:27], v[6:7], -v[2:3]
	ds_load_b128 v[0:3], v255 offset:14688
	v_add_f64_e32 v[211:212], v[134:135], v[22:23]
	v_mul_f64_e32 v[209:210], s[24:25], v[205:206]
	v_add_f64_e32 v[219:220], v[28:29], v[24:25]
	v_fma_f64 v[26:27], v[32:33], v[10:11], -v[4:5]
	ds_load_b128 v[4:7], v255 offset:17136
	scratch_load_b128 v[32:35], off, off offset:188 th:TH_LOAD_LU ; 16-byte Folded Reload
	v_mul_f64_e32 v[215:216], s[22:23], v[211:212]
	v_add_f64_e64 v[225:226], v[28:29], -v[24:25]
	v_mul_f64_e32 v[249:250], s[30:31], v[205:206]
	v_mul_f64_e32 v[251:252], s[16:17], v[211:212]
	;; [unrolled: 1-line block ×6, first 2 shown]
	global_wb scope:SCOPE_SE
	s_wait_loadcnt_dscnt 0x0
	s_barrier_signal -1
	s_barrier_wait -1
	global_inv scope:SCOPE_SE
	v_mul_f64_e32 v[36:37], v[46:47], v[6:7]
	v_add_f64_e64 v[217:218], v[30:31], -v[26:27]
	v_add_f64_e32 v[223:224], v[30:31], v[26:27]
	v_fma_f64 v[86:87], v[213:214], s[46:47], v[84:85]
	v_fma_f64 v[98:99], v[213:214], s[28:29], v[96:97]
	;; [unrolled: 1-line block ×5, first 2 shown]
	v_mul_f64_e32 v[221:222], s[42:43], v[217:218]
	v_mul_f64_e32 v[227:228], s[16:17], v[223:224]
	;; [unrolled: 1-line block ×7, first 2 shown]
	s_delay_alu instid0(VALU_DEP_4) | instskip(NEXT) | instid1(VALU_DEP_4)
	v_fma_f64 v[62:63], v[225:226], s[44:45], v[60:61]
	v_fma_f64 v[50:51], v[225:226], s[38:39], v[48:49]
	s_delay_alu instid0(VALU_DEP_4) | instskip(NEXT) | instid1(VALU_DEP_4)
	v_fma_f64 v[102:103], v[225:226], s[26:27], v[100:101]
	v_fma_f64 v[110:111], v[225:226], s[46:47], v[108:109]
	v_fma_f64 v[48:49], v[225:226], s[40:41], v[48:49]
	v_mul_f64_e32 v[8:9], v[34:35], v[2:3]
	v_mul_f64_e32 v[10:11], v[34:35], v[0:1]
	s_delay_alu instid0(VALU_DEP_2) | instskip(NEXT) | instid1(VALU_DEP_2)
	v_fma_f64 v[34:35], v[32:33], v[0:1], v[8:9]
	v_fma_f64 v[32:33], v[32:33], v[2:3], -v[10:11]
	v_mul_f64_e32 v[0:1], v[46:47], v[4:5]
	v_add_f64_e64 v[2:3], v[42:43], -v[52:53]
	s_delay_alu instid0(VALU_DEP_4) | instskip(SKIP_1) | instid1(VALU_DEP_4)
	v_add_f64_e32 v[231:232], v[34:35], v[38:39]
	v_add_f64_e64 v[237:238], v[34:35], -v[38:39]
	v_fma_f64 v[36:37], v[44:45], v[6:7], -v[0:1]
	v_add_f64_e32 v[0:1], v[40:41], v[54:55]
	v_mul_f64_e32 v[4:5], s[46:47], v[2:3]
	v_mul_f64_e32 v[6:7], s[40:41], v[2:3]
	;; [unrolled: 1-line block ×6, first 2 shown]
	v_add_f64_e32 v[40:41], v[140:141], v[40:41]
	v_add_f64_e64 v[229:230], v[32:33], -v[36:37]
	v_add_f64_e32 v[235:236], v[32:33], v[36:37]
	v_fma_f64 v[46:47], v[0:1], s[2:3], v[4:5]
	v_fma_f64 v[4:5], v[0:1], s[2:3], -v[4:5]
	v_fma_f64 v[136:137], v[0:1], s[36:37], v[6:7]
	v_fma_f64 v[6:7], v[0:1], s[36:37], -v[6:7]
	;; [unrolled: 2-line block ×6, first 2 shown]
	v_add_f64_e32 v[2:3], v[42:43], v[52:53]
	v_add_f64_e32 v[42:43], v[142:143], v[42:43]
	;; [unrolled: 1-line block ×3, first 2 shown]
	v_mul_f64_e32 v[233:234], s[26:27], v[229:230]
	v_mul_f64_e32 v[239:240], s[10:11], v[235:236]
	;; [unrolled: 1-line block ×3, first 2 shown]
	v_add_f64_e32 v[178:179], v[140:141], v[136:137]
	v_add_f64_e32 v[136:137], v[140:141], v[6:7]
	;; [unrolled: 1-line block ×7, first 2 shown]
	v_mul_f64_e32 v[10:11], s[2:3], v[2:3]
	v_mul_f64_e32 v[44:45], s[36:37], v[2:3]
	v_mul_f64_e32 v[138:139], s[14:15], v[2:3]
	v_mul_f64_e32 v[156:157], s[22:23], v[2:3]
	v_mul_f64_e32 v[158:159], s[16:17], v[2:3]
	v_mul_f64_e32 v[2:3], s[10:11], v[2:3]
	v_mul_f64_e32 v[148:149], s[36:37], v[194:195]
	v_mul_f64_e32 v[150:151], s[44:45], v[196:197]
	v_add_f64_e32 v[42:43], v[42:43], v[56:57]
	v_add_f64_e32 v[40:41], v[40:41], v[112:113]
	v_fma_f64 v[66:67], v[231:232], s[2:3], v[64:65]
	v_fma_f64 v[162:163], v[160:161], s[46:47], v[10:11]
	;; [unrolled: 1-line block ×13, first 2 shown]
	v_add_f64_e32 v[44:45], v[140:141], v[46:47]
	v_add_f64_e32 v[160:161], v[140:141], v[4:5]
	;; [unrolled: 1-line block ×20, first 2 shown]
	v_mul_f64_e32 v[142:143], s[40:41], v[192:193]
	v_add_f64_e64 v[144:145], v[58:59], -v[14:15]
	v_add_f64_e32 v[146:147], v[112:113], v[16:17]
	v_add_f64_e32 v[42:43], v[42:43], v[134:135]
	v_add_f64_e32 v[28:29], v[40:41], v[28:29]
	v_fma_f64 v[0:1], v[140:141], s[36:37], -v[142:143]
	v_fma_f64 v[2:3], v[144:145], s[40:41], v[148:149]
	v_fma_f64 v[152:153], v[146:147], s[14:15], -v[150:151]
	v_fma_f64 v[154:155], v[144:145], s[34:35], v[243:244]
	v_fma_f64 v[156:157], v[146:147], s[10:11], v[245:246]
	;; [unrolled: 1-line block ×6, first 2 shown]
	v_add_f64_e32 v[30:31], v[42:43], v[30:31]
	v_add_f64_e32 v[28:29], v[28:29], v[34:35]
	v_fma_f64 v[34:35], v[140:141], s[36:37], v[142:143]
	v_fma_f64 v[40:41], v[144:145], s[24:25], v[243:244]
	;; [unrolled: 1-line block ×3, first 2 shown]
	v_add_f64_e32 v[0:1], v[0:1], v[160:161]
	v_add_f64_e32 v[2:3], v[2:3], v[162:163]
	;; [unrolled: 1-line block ×5, first 2 shown]
	v_mul_f64_e32 v[172:173], s[2:3], v[194:195]
	v_add_f64_e32 v[30:31], v[30:31], v[32:33]
	v_fma_f64 v[32:33], v[140:141], s[22:23], -v[241:242]
	v_add_f64_e32 v[28:29], v[28:29], v[38:39]
	v_fma_f64 v[38:39], v[146:147], s[10:11], -v[245:246]
	v_add_f64_e32 v[34:35], v[34:35], v[44:45]
	v_fma_f64 v[44:45], v[200:201], s[26:27], v[247:248]
	v_add_f64_e32 v[42:43], v[42:43], v[46:47]
	v_add_f64_e32 v[0:1], v[152:153], v[0:1]
	v_fma_f64 v[152:153], v[200:201], s[44:45], v[202:203]
	v_add_f64_e32 v[70:71], v[78:79], v[70:71]
	v_mul_f64_e32 v[78:79], s[18:19], v[205:206]
	v_add_f64_e32 v[82:83], v[94:95], v[82:83]
	v_mul_f64_e32 v[94:95], s[44:45], v[205:206]
	v_add_f64_e32 v[30:31], v[30:31], v[36:37]
	v_add_f64_e32 v[32:33], v[32:33], v[136:137]
	;; [unrolled: 1-line block ×3, first 2 shown]
	v_fma_f64 v[40:41], v[146:147], s[14:15], v[150:151]
	v_add_f64_e32 v[24:25], v[28:29], v[24:25]
	v_add_f64_e32 v[2:3], v[152:153], v[2:3]
	v_fma_f64 v[152:153], v[207:208], s[22:23], -v[209:210]
	v_add_f64_e32 v[70:71], v[86:87], v[70:71]
	v_mul_f64_e32 v[86:87], s[40:41], v[217:218]
	v_add_f64_e32 v[82:83], v[98:99], v[82:83]
	v_mul_f64_e32 v[98:99], s[20:21], v[217:218]
	v_add_f64_e32 v[26:27], v[30:31], v[26:27]
	v_add_f64_e32 v[28:29], v[38:39], v[32:33]
	;; [unrolled: 1-line block ×3, first 2 shown]
	v_fma_f64 v[32:33], v[207:208], s[16:17], -v[249:250]
	v_fma_f64 v[36:37], v[207:208], s[22:23], v[209:210]
	v_add_f64_e32 v[34:35], v[40:41], v[34:35]
	v_fma_f64 v[38:39], v[213:214], s[30:31], v[251:252]
	v_fma_f64 v[40:41], v[213:214], s[34:35], v[215:216]
	v_add_f64_e32 v[20:21], v[24:25], v[20:21]
	v_add_f64_e32 v[0:1], v[152:153], v[0:1]
	v_fma_f64 v[152:153], v[213:214], s[24:25], v[215:216]
	v_add_f64_e32 v[50:51], v[50:51], v[70:71]
	v_mul_f64_e32 v[70:71], s[42:43], v[229:230]
	v_add_f64_e32 v[82:83], v[102:103], v[82:83]
	v_mul_f64_e32 v[102:103], s[38:39], v[229:230]
	v_add_f64_e32 v[22:23], v[26:27], v[22:23]
	v_add_f64_e32 v[24:25], v[32:33], v[28:29]
	v_fma_f64 v[28:29], v[219:220], s[14:15], -v[253:254]
	v_add_f64_e32 v[32:33], v[36:37], v[34:35]
	v_add_f64_e32 v[26:27], v[38:39], v[30:31]
	v_fma_f64 v[30:31], v[219:220], s[16:17], v[221:222]
	v_fma_f64 v[34:35], v[225:226], s[28:29], v[60:61]
	v_fma_f64 v[36:37], v[225:226], s[30:31], v[227:228]
	v_add_f64_e32 v[16:17], v[20:21], v[16:17]
	v_add_f64_e32 v[2:3], v[152:153], v[2:3]
	v_fma_f64 v[152:153], v[219:220], s[16:17], -v[221:222]
	v_add_f64_e32 v[18:19], v[22:23], v[18:19]
	v_add_f64_e32 v[20:21], v[28:29], v[24:25]
	v_fma_f64 v[24:25], v[231:232], s[2:3], -v[64:65]
	v_add_f64_e32 v[28:29], v[30:31], v[32:33]
	v_add_f64_e32 v[22:23], v[34:35], v[26:27]
	v_fma_f64 v[26:27], v[231:232], s[10:11], v[233:234]
	v_fma_f64 v[32:33], v[237:238], s[20:21], v[239:240]
	v_add_f64_e32 v[0:1], v[152:153], v[0:1]
	v_fma_f64 v[152:153], v[225:226], s[42:43], v[227:228]
	s_delay_alu instid0(VALU_DEP_1) | instskip(SKIP_1) | instid1(VALU_DEP_1)
	v_add_f64_e32 v[2:3], v[152:153], v[2:3]
	v_fma_f64 v[152:153], v[231:232], s[10:11], -v[233:234]
	v_add_f64_e32 v[0:1], v[152:153], v[0:1]
	v_fma_f64 v[152:153], v[237:238], s[26:27], v[239:240]
	s_delay_alu instid0(VALU_DEP_1) | instskip(SKIP_1) | instid1(VALU_DEP_1)
	v_add_f64_e32 v[2:3], v[152:153], v[2:3]
	v_fma_f64 v[152:153], v[140:141], s[22:23], v[241:242]
	v_add_f64_e32 v[152:153], v[152:153], v[178:179]
	v_mul_f64_e32 v[178:179], s[14:15], v[194:195]
	s_delay_alu instid0(VALU_DEP_2) | instskip(SKIP_1) | instid1(VALU_DEP_1)
	v_add_f64_e32 v[152:153], v[156:157], v[152:153]
	v_fma_f64 v[156:157], v[200:201], s[20:21], v[247:248]
	v_add_f64_e32 v[154:155], v[156:157], v[154:155]
	v_fma_f64 v[156:157], v[207:208], s[16:17], v[249:250]
	s_delay_alu instid0(VALU_DEP_1) | instskip(SKIP_1) | instid1(VALU_DEP_1)
	v_add_f64_e32 v[152:153], v[156:157], v[152:153]
	v_fma_f64 v[156:157], v[213:214], s[42:43], v[251:252]
	v_add_f64_e32 v[154:155], v[156:157], v[154:155]
	v_fma_f64 v[156:157], v[219:220], s[14:15], v[253:254]
	s_delay_alu instid0(VALU_DEP_2) | instskip(NEXT) | instid1(VALU_DEP_2)
	v_add_f64_e32 v[62:63], v[62:63], v[154:155]
	v_add_f64_e32 v[152:153], v[156:157], v[152:153]
	s_delay_alu instid0(VALU_DEP_1) | instskip(SKIP_1) | instid1(VALU_DEP_1)
	v_add_f64_e32 v[152:153], v[66:67], v[152:153]
	v_mul_f64_e32 v[66:67], s[2:3], v[235:236]
	v_fma_f64 v[154:155], v[237:238], s[46:47], v[66:67]
	v_fma_f64 v[30:31], v[237:238], s[18:19], v[66:67]
	s_delay_alu instid0(VALU_DEP_2) | instskip(SKIP_1) | instid1(VALU_DEP_1)
	v_add_f64_e32 v[154:155], v[154:155], v[62:63]
	v_mul_f64_e32 v[62:63], s[26:27], v[192:193]
	v_fma_f64 v[156:157], v[140:141], s[10:11], v[62:63]
	s_delay_alu instid0(VALU_DEP_1) | instskip(SKIP_1) | instid1(VALU_DEP_2)
	v_add_f64_e32 v[156:157], v[156:157], v[166:167]
	v_fma_f64 v[166:167], v[144:145], s[44:45], v[178:179]
	v_add_f64_e32 v[74:75], v[74:75], v[156:157]
	v_fma_f64 v[156:157], v[207:208], s[2:3], v[78:79]
	s_delay_alu instid0(VALU_DEP_3) | instskip(SKIP_1) | instid1(VALU_DEP_3)
	v_add_f64_e32 v[166:167], v[166:167], v[174:175]
	v_mul_f64_e32 v[174:175], s[42:43], v[196:197]
	v_add_f64_e32 v[74:75], v[156:157], v[74:75]
	v_fma_f64 v[156:157], v[219:220], s[36:37], v[86:87]
	s_delay_alu instid0(VALU_DEP_4) | instskip(NEXT) | instid1(VALU_DEP_2)
	v_add_f64_e32 v[106:107], v[106:107], v[166:167]
	v_add_f64_e32 v[74:75], v[156:157], v[74:75]
	v_fma_f64 v[156:157], v[231:232], s[16:17], v[70:71]
	s_delay_alu instid0(VALU_DEP_3) | instskip(SKIP_1) | instid1(VALU_DEP_3)
	v_add_f64_e32 v[106:107], v[122:123], v[106:107]
	v_mul_f64_e32 v[122:123], s[18:19], v[217:218]
	v_add_f64_e32 v[156:157], v[156:157], v[74:75]
	v_mul_f64_e32 v[74:75], s[16:17], v[235:236]
	s_delay_alu instid0(VALU_DEP_4) | instskip(SKIP_1) | instid1(VALU_DEP_3)
	v_add_f64_e32 v[106:107], v[110:111], v[106:107]
	v_mul_f64_e32 v[110:111], s[24:25], v[229:230]
	v_fma_f64 v[158:159], v[237:238], s[30:31], v[74:75]
	s_delay_alu instid0(VALU_DEP_1) | instskip(SKIP_1) | instid1(VALU_DEP_1)
	v_add_f64_e32 v[158:159], v[158:159], v[50:51]
	v_mul_f64_e32 v[50:51], s[30:31], v[192:193]
	v_fma_f64 v[160:161], v[140:141], s[16:17], v[50:51]
	v_fma_f64 v[50:51], v[140:141], s[16:17], -v[50:51]
	s_delay_alu instid0(VALU_DEP_2) | instskip(SKIP_1) | instid1(VALU_DEP_3)
	v_add_f64_e32 v[160:161], v[160:161], v[170:171]
	v_fma_f64 v[170:171], v[144:145], s[46:47], v[172:173]
	v_add_f64_e32 v[6:7], v[50:51], v[6:7]
	v_fma_f64 v[50:51], v[144:145], s[30:31], v[80:81]
	v_fma_f64 v[172:173], v[144:145], s[18:19], v[172:173]
	v_add_f64_e32 v[90:91], v[90:91], v[160:161]
	v_fma_f64 v[160:161], v[207:208], s[14:15], v[94:95]
	v_add_f64_e32 v[170:171], v[170:171], v[176:177]
	;; [unrolled: 2-line block ×3, first 2 shown]
	v_fma_f64 v[50:51], v[146:147], s[2:3], -v[88:89]
	v_fma_f64 v[174:175], v[146:147], s[16:17], -v[174:175]
	v_add_f64_e32 v[172:173], v[172:173], v[190:191]
	v_add_f64_e32 v[90:91], v[160:161], v[90:91]
	v_fma_f64 v[160:161], v[219:220], s[10:11], v[98:99]
	v_add_f64_e32 v[6:7], v[50:51], v[6:7]
	v_fma_f64 v[50:51], v[200:201], s[18:19], v[92:93]
	s_delay_alu instid0(VALU_DEP_3) | instskip(SKIP_1) | instid1(VALU_DEP_3)
	v_add_f64_e32 v[90:91], v[160:161], v[90:91]
	v_fma_f64 v[160:161], v[231:232], s[36:37], v[102:103]
	v_add_f64_e32 v[4:5], v[50:51], v[4:5]
	v_fma_f64 v[50:51], v[207:208], s[14:15], -v[94:95]
	s_delay_alu instid0(VALU_DEP_3) | instskip(SKIP_1) | instid1(VALU_DEP_3)
	v_add_f64_e32 v[160:161], v[160:161], v[90:91]
	v_mul_f64_e32 v[90:91], s[36:37], v[235:236]
	v_add_f64_e32 v[6:7], v[50:51], v[6:7]
	v_fma_f64 v[50:51], v[213:214], s[44:45], v[96:97]
	s_delay_alu instid0(VALU_DEP_3) | instskip(SKIP_1) | instid1(VALU_DEP_3)
	v_fma_f64 v[162:163], v[237:238], s[40:41], v[90:91]
	v_fma_f64 v[80:81], v[237:238], s[38:39], v[90:91]
	v_add_f64_e32 v[4:5], v[50:51], v[4:5]
	v_fma_f64 v[50:51], v[219:220], s[10:11], -v[98:99]
	s_delay_alu instid0(VALU_DEP_4) | instskip(SKIP_1) | instid1(VALU_DEP_3)
	v_add_f64_e32 v[162:163], v[162:163], v[82:83]
	v_mul_f64_e32 v[82:83], s[28:29], v[192:193]
	v_add_f64_e32 v[6:7], v[50:51], v[6:7]
	v_fma_f64 v[50:51], v[225:226], s[20:21], v[100:101]
	s_delay_alu instid0(VALU_DEP_3) | instskip(SKIP_1) | instid1(VALU_DEP_3)
	v_fma_f64 v[164:165], v[140:141], s[14:15], v[82:83]
	v_fma_f64 v[82:83], v[140:141], s[14:15], -v[82:83]
	v_add_f64_e32 v[50:51], v[50:51], v[4:5]
	v_fma_f64 v[4:5], v[231:232], s[36:37], -v[102:103]
	s_delay_alu instid0(VALU_DEP_4) | instskip(SKIP_2) | instid1(VALU_DEP_4)
	v_add_f64_e32 v[164:165], v[164:165], v[180:181]
	v_mul_f64_e32 v[180:181], s[40:41], v[196:197]
	v_add_f64_e32 v[82:83], v[82:83], v[182:183]
	v_add_f64_e32 v[4:5], v[4:5], v[6:7]
	;; [unrolled: 1-line block ×3, first 2 shown]
	v_fma_f64 v[50:51], v[140:141], s[10:11], -v[62:63]
	v_fma_f64 v[168:169], v[146:147], s[36:37], v[180:181]
	s_delay_alu instid0(VALU_DEP_2) | instskip(SKIP_1) | instid1(VALU_DEP_3)
	v_add_f64_e32 v[10:11], v[50:51], v[10:11]
	v_fma_f64 v[50:51], v[144:145], s[26:27], v[68:69]
	v_add_f64_e32 v[164:165], v[168:169], v[164:165]
	s_delay_alu instid0(VALU_DEP_2) | instskip(SKIP_1) | instid1(VALU_DEP_3)
	v_add_f64_e32 v[8:9], v[50:51], v[8:9]
	v_fma_f64 v[50:51], v[146:147], s[22:23], -v[72:73]
	v_add_f64_e32 v[118:119], v[118:119], v[164:165]
	v_fma_f64 v[164:165], v[219:220], s[2:3], v[122:123]
	s_delay_alu instid0(VALU_DEP_3) | instskip(SKIP_1) | instid1(VALU_DEP_3)
	v_add_f64_e32 v[10:11], v[50:51], v[10:11]
	v_fma_f64 v[50:51], v[200:201], s[34:35], v[76:77]
	v_add_f64_e32 v[118:119], v[164:165], v[118:119]
	v_fma_f64 v[164:165], v[231:232], s[22:23], v[110:111]
	s_delay_alu instid0(VALU_DEP_3) | instskip(SKIP_1) | instid1(VALU_DEP_3)
	v_add_f64_e32 v[8:9], v[50:51], v[8:9]
	v_fma_f64 v[50:51], v[207:208], s[2:3], -v[78:79]
	v_add_f64_e32 v[164:165], v[164:165], v[118:119]
	v_mul_f64_e32 v[118:119], s[22:23], v[235:236]
	s_delay_alu instid0(VALU_DEP_3) | instskip(SKIP_1) | instid1(VALU_DEP_3)
	v_add_f64_e32 v[10:11], v[50:51], v[10:11]
	v_fma_f64 v[50:51], v[213:214], s[18:19], v[84:85]
	v_fma_f64 v[166:167], v[237:238], s[34:35], v[118:119]
	s_delay_alu instid0(VALU_DEP_2) | instskip(SKIP_1) | instid1(VALU_DEP_3)
	v_add_f64_e32 v[8:9], v[50:51], v[8:9]
	v_fma_f64 v[50:51], v[219:220], s[36:37], -v[86:87]
	v_add_f64_e32 v[166:167], v[166:167], v[106:107]
	v_mul_f64_e32 v[106:107], s[18:19], v[192:193]
	s_delay_alu instid0(VALU_DEP_4) | instskip(NEXT) | instid1(VALU_DEP_4)
	v_add_f64_e32 v[48:49], v[48:49], v[8:9]
	v_add_f64_e32 v[10:11], v[50:51], v[10:11]
	v_fma_f64 v[8:9], v[231:232], s[16:17], -v[70:71]
	v_fma_f64 v[50:51], v[237:238], s[42:43], v[74:75]
	v_fma_f64 v[168:169], v[140:141], s[2:3], v[106:107]
	v_fma_f64 v[106:107], v[140:141], s[2:3], -v[106:107]
	s_delay_alu instid0(VALU_DEP_4) | instskip(NEXT) | instid1(VALU_DEP_4)
	v_add_f64_e32 v[8:9], v[8:9], v[10:11]
	v_add_f64_e32 v[10:11], v[50:51], v[48:49]
	v_fma_f64 v[48:49], v[200:201], s[28:29], v[202:203]
	v_add_f64_e32 v[168:169], v[168:169], v[186:187]
	v_add_f64_e32 v[106:107], v[106:107], v[188:189]
	s_delay_alu instid0(VALU_DEP_3) | instskip(NEXT) | instid1(VALU_DEP_3)
	v_add_f64_e32 v[42:43], v[48:49], v[42:43]
	v_add_f64_e32 v[168:169], v[176:177], v[168:169]
	v_mul_f64_e32 v[176:177], s[16:17], v[198:199]
	s_delay_alu instid0(VALU_DEP_4) | instskip(NEXT) | instid1(VALU_DEP_4)
	v_add_f64_e32 v[106:107], v[174:175], v[106:107]
	v_add_f64_e32 v[38:39], v[40:41], v[42:43]
	s_delay_alu instid0(VALU_DEP_3) | instskip(SKIP_1) | instid1(VALU_DEP_3)
	v_fma_f64 v[186:187], v[200:201], s[30:31], v[176:177]
	v_fma_f64 v[174:175], v[200:201], s[42:43], v[176:177]
	v_add_f64_e32 v[34:35], v[36:37], v[38:39]
	v_add_f64_e32 v[36:37], v[16:17], v[14:15]
	;; [unrolled: 1-line block ×7, first 2 shown]
	v_mul_f64_e32 v[186:187], s[38:39], v[205:206]
	v_add_f64_e32 v[172:173], v[174:175], v[172:173]
	v_mul_f64_e32 v[205:206], s[14:15], v[235:236]
	v_add_f64_e32 v[18:19], v[32:33], v[34:35]
	v_add_f64_e32 v[20:21], v[36:37], v[54:55]
	;; [unrolled: 1-line block ×3, first 2 shown]
	v_fma_f64 v[192:193], v[207:208], s[36:37], v[186:187]
	v_fma_f64 v[174:175], v[207:208], s[36:37], -v[186:187]
	v_fma_f64 v[176:177], v[237:238], s[28:29], v[205:206]
	s_delay_alu instid0(VALU_DEP_3) | instskip(SKIP_1) | instid1(VALU_DEP_4)
	v_add_f64_e32 v[168:169], v[192:193], v[168:169]
	v_mul_f64_e32 v[192:193], s[36:37], v[211:212]
	v_add_f64_e32 v[106:107], v[174:175], v[106:107]
	s_delay_alu instid0(VALU_DEP_2) | instskip(SKIP_1) | instid1(VALU_DEP_2)
	v_fma_f64 v[194:195], v[213:214], s[40:41], v[192:193]
	v_fma_f64 v[174:175], v[213:214], s[38:39], v[192:193]
	v_add_f64_e32 v[170:171], v[194:195], v[170:171]
	v_mul_f64_e32 v[194:195], s[24:25], v[217:218]
	s_delay_alu instid0(VALU_DEP_3) | instskip(NEXT) | instid1(VALU_DEP_2)
	v_add_f64_e32 v[172:173], v[174:175], v[172:173]
	v_fma_f64 v[196:197], v[219:220], s[22:23], v[194:195]
	v_fma_f64 v[174:175], v[219:220], s[22:23], -v[194:195]
	s_delay_alu instid0(VALU_DEP_2) | instskip(SKIP_1) | instid1(VALU_DEP_3)
	v_add_f64_e32 v[168:169], v[196:197], v[168:169]
	v_mul_f64_e32 v[196:197], s[22:23], v[223:224]
	v_add_f64_e32 v[106:107], v[174:175], v[106:107]
	s_delay_alu instid0(VALU_DEP_2) | instskip(SKIP_1) | instid1(VALU_DEP_2)
	v_fma_f64 v[198:199], v[225:226], s[34:35], v[196:197]
	v_fma_f64 v[174:175], v[225:226], s[24:25], v[196:197]
	v_add_f64_e32 v[170:171], v[198:199], v[170:171]
	v_mul_f64_e32 v[198:199], s[28:29], v[229:230]
	s_delay_alu instid0(VALU_DEP_3) | instskip(NEXT) | instid1(VALU_DEP_2)
	v_add_f64_e32 v[174:175], v[174:175], v[172:173]
	v_fma_f64 v[172:173], v[231:232], s[14:15], -v[198:199]
	s_delay_alu instid0(VALU_DEP_2) | instskip(SKIP_2) | instid1(VALU_DEP_4)
	v_add_f64_e32 v[174:175], v[176:177], v[174:175]
	v_fma_f64 v[176:177], v[146:147], s[36:37], -v[180:181]
	v_fma_f64 v[211:212], v[231:232], s[14:15], v[198:199]
	v_add_f64_e32 v[172:173], v[172:173], v[106:107]
	v_fma_f64 v[106:107], v[144:145], s[28:29], v[178:179]
	s_delay_alu instid0(VALU_DEP_4) | instskip(NEXT) | instid1(VALU_DEP_4)
	v_add_f64_e32 v[82:83], v[176:177], v[82:83]
	v_add_f64_e32 v[168:169], v[211:212], v[168:169]
	v_fma_f64 v[211:212], v[237:238], s[44:45], v[205:206]
	s_delay_alu instid0(VALU_DEP_4) | instskip(NEXT) | instid1(VALU_DEP_2)
	v_add_f64_e32 v[106:107], v[106:107], v[184:185]
	v_add_f64_e32 v[170:171], v[211:212], v[170:171]
	s_delay_alu instid0(VALU_DEP_2) | instskip(SKIP_1) | instid1(VALU_DEP_1)
	v_add_f64_e32 v[104:105], v[104:105], v[106:107]
	v_fma_f64 v[106:107], v[207:208], s[10:11], -v[116:117]
	v_add_f64_e32 v[82:83], v[106:107], v[82:83]
	v_fma_f64 v[106:107], v[213:214], s[20:21], v[120:121]
	s_delay_alu instid0(VALU_DEP_1) | instskip(SKIP_1) | instid1(VALU_DEP_1)
	v_add_f64_e32 v[104:105], v[106:107], v[104:105]
	v_fma_f64 v[106:107], v[219:220], s[2:3], -v[122:123]
	v_add_f64_e32 v[82:83], v[106:107], v[82:83]
	v_fma_f64 v[106:107], v[225:226], s[18:19], v[108:109]
	v_fma_f64 v[108:109], v[237:238], s[24:25], v[118:119]
	s_delay_alu instid0(VALU_DEP_2) | instskip(SKIP_1) | instid1(VALU_DEP_2)
	v_add_f64_e32 v[104:105], v[106:107], v[104:105]
	v_fma_f64 v[106:107], v[231:232], s[22:23], -v[110:111]
	v_add_f64_e32 v[178:179], v[108:109], v[104:105]
	s_delay_alu instid0(VALU_DEP_2)
	v_add_f64_e32 v[176:177], v[106:107], v[82:83]
	ds_store_b128 v204, v[152:155] offset:544
	ds_store_b128 v204, v[156:159] offset:816
	;; [unrolled: 1-line block ×12, first 2 shown]
	ds_store_b128 v204, v[20:23]
	global_wb scope:SCOPE_SE
	s_wait_dscnt 0x0
	s_barrier_signal -1
	s_barrier_wait -1
	global_inv scope:SCOPE_SE
	ds_load_b128 v[16:19], v255
	ds_load_b128 v[44:47], v255 offset:3536
	ds_load_b128 v[28:31], v255 offset:7072
	;; [unrolled: 1-line block ×8, first 2 shown]
	s_and_saveexec_b32 s1, s0
	s_cbranch_execz .LBB0_19
; %bb.18:
	ds_load_b128 v[4:7], v255 offset:2448
	ds_load_b128 v[8:11], v255 offset:5984
	;; [unrolled: 1-line block ×7, first 2 shown]
	s_wait_dscnt 0x0
	scratch_store_b128 off, v[48:51], off offset:44 ; 16-byte Folded Spill
	ds_load_b128 v[48:51], v255 offset:27200
	s_wait_dscnt 0x0
	scratch_store_b128 off, v[48:51], off offset:28 ; 16-byte Folded Spill
	ds_load_b128 v[48:51], v255 offset:30736
	s_wait_dscnt 0x0
	scratch_store_b128 off, v[48:51], off offset:12 ; 16-byte Folded Spill
.LBB0_19:
	s_wait_alu 0xfffe
	s_or_b32 exec_lo, exec_lo, s1
	s_clause 0x2
	scratch_load_b128 v[72:75], off, off offset:252 th:TH_LOAD_LU
	scratch_load_b128 v[80:83], off, off offset:316 th:TH_LOAD_LU
	;; [unrolled: 1-line block ×3, first 2 shown]
	s_mov_b32 s10, 0x523c161c
	s_mov_b32 s2, 0x8c811c17
	;; [unrolled: 1-line block ×7, first 2 shown]
	s_wait_alu 0xfffe
	s_mov_b32 s16, s10
	s_mov_b32 s22, 0x7e0b738b
	;; [unrolled: 1-line block ×6, first 2 shown]
	s_wait_alu 0xfffe
	s_mov_b32 s20, s18
	s_mov_b32 s24, 0x748a0bf8
	;; [unrolled: 1-line block ×5, first 2 shown]
	s_wait_loadcnt_dscnt 0x207
	v_mul_f64_e32 v[48:49], v[74:75], v[46:47]
	v_mul_f64_e32 v[50:51], v[74:75], v[44:45]
	scratch_load_b128 v[74:77], off, off offset:284 th:TH_LOAD_LU ; 16-byte Folded Reload
	s_wait_loadcnt_dscnt 0x200
	v_mul_f64_e32 v[54:55], v[82:83], v[134:135]
	v_mul_f64_e32 v[56:57], v[82:83], v[132:133]
	v_fma_f64 v[44:45], v[72:73], v[44:45], v[48:49]
	v_fma_f64 v[46:47], v[72:73], v[46:47], -v[50:51]
	s_delay_alu instid0(VALU_DEP_4) | instskip(NEXT) | instid1(VALU_DEP_4)
	v_fma_f64 v[48:49], v[80:81], v[132:133], v[54:55]
	v_fma_f64 v[50:51], v[80:81], v[134:135], -v[56:57]
	s_wait_loadcnt 0x0
	v_mul_f64_e32 v[64:65], v[76:77], v[30:31]
	v_mul_f64_e32 v[66:67], v[76:77], v[28:29]
	scratch_load_b128 v[76:79], off, off offset:300 th:TH_LOAD_LU ; 16-byte Folded Reload
	v_fma_f64 v[28:29], v[74:75], v[28:29], v[64:65]
	v_fma_f64 v[30:31], v[74:75], v[30:31], -v[66:67]
	s_wait_loadcnt 0x0
	v_mul_f64_e32 v[68:69], v[78:79], v[34:35]
	v_mul_f64_e32 v[70:71], v[78:79], v[32:33]
	s_delay_alu instid0(VALU_DEP_2) | instskip(NEXT) | instid1(VALU_DEP_2)
	v_fma_f64 v[32:33], v[76:77], v[32:33], v[68:69]
	v_fma_f64 v[34:35], v[76:77], v[34:35], -v[70:71]
	scratch_load_b128 v[74:77], off, off offset:268 th:TH_LOAD_LU ; 16-byte Folded Reload
	v_mul_f64_e32 v[52:53], v[86:87], v[42:43]
	v_mul_f64_e32 v[58:59], v[86:87], v[40:41]
	scratch_load_b128 v[86:89], off, off offset:348 th:TH_LOAD_LU ; 16-byte Folded Reload
	v_add_f64_e32 v[66:67], v[28:29], v[32:33]
	v_add_f64_e32 v[68:69], v[30:31], v[34:35]
	v_add_f64_e64 v[28:29], v[28:29], -v[32:33]
	v_fma_f64 v[40:41], v[84:85], v[40:41], v[52:53]
	v_fma_f64 v[42:43], v[84:85], v[42:43], -v[58:59]
	v_add_f64_e64 v[30:31], v[30:31], -v[34:35]
	s_wait_loadcnt 0x1
	v_mul_f64_e32 v[52:53], v[76:77], v[22:23]
	v_mul_f64_e32 v[54:55], v[76:77], v[20:21]
	scratch_load_b128 v[76:79], off, off offset:364 th:TH_LOAD_LU ; 16-byte Folded Reload
	s_wait_loadcnt 0x1
	v_mul_f64_e32 v[60:61], v[88:89], v[38:39]
	v_mul_f64_e32 v[62:63], v[88:89], v[36:37]
	v_fma_f64 v[20:21], v[74:75], v[20:21], v[52:53]
	v_fma_f64 v[22:23], v[74:75], v[22:23], -v[54:55]
	v_fma_f64 v[74:75], v[66:67], s[14:15], v[16:17]
	v_fma_f64 v[36:37], v[86:87], v[36:37], v[60:61]
	v_fma_f64 v[38:39], v[86:87], v[38:39], -v[62:63]
	v_add_f64_e64 v[60:61], v[44:45], -v[48:49]
	v_add_f64_e64 v[62:63], v[46:47], -v[50:51]
	v_add_f64_e32 v[44:45], v[44:45], v[48:49]
	v_add_f64_e32 v[46:47], v[46:47], v[50:51]
	v_add_f64_e64 v[48:49], v[40:41], -v[36:37]
	v_add_f64_e64 v[64:65], v[42:43], -v[38:39]
	v_add_f64_e32 v[70:71], v[40:41], v[36:37]
	v_add_f64_e32 v[72:73], v[42:43], v[38:39]
	v_mul_f64_e32 v[32:33], s[10:11], v[60:61]
	v_mul_f64_e32 v[34:35], s[10:11], v[62:63]
	v_fma_f64 v[50:51], v[44:45], s[14:15], v[16:17]
	v_fma_f64 v[82:83], v[46:47], s[14:15], v[18:19]
	v_add_f64_e32 v[88:89], v[66:67], v[44:45]
	v_add_f64_e32 v[90:91], v[68:69], v[46:47]
	v_mul_f64_e32 v[52:53], s[16:17], v[48:49]
	v_mul_f64_e32 v[54:55], s[16:17], v[64:65]
	v_fma_f64 v[80:81], v[72:73], s[14:15], v[18:19]
	v_add_f64_e32 v[96:97], v[70:71], v[88:89]
	v_add_f64_e32 v[98:99], v[72:73], v[90:91]
	s_wait_loadcnt 0x0
	v_mul_f64_e32 v[56:57], v[78:79], v[26:27]
	v_mul_f64_e32 v[58:59], v[78:79], v[24:25]
	v_fma_f64 v[78:79], v[70:71], s[14:15], v[16:17]
	s_delay_alu instid0(VALU_DEP_3) | instskip(NEXT) | instid1(VALU_DEP_3)
	v_fma_f64 v[24:25], v[76:77], v[24:25], v[56:57]
	v_fma_f64 v[26:27], v[76:77], v[26:27], -v[58:59]
	v_mul_f64_e32 v[56:57], s[2:3], v[48:49]
	v_mul_f64_e32 v[58:59], s[2:3], v[64:65]
	v_fma_f64 v[76:77], v[68:69], s[14:15], v[18:19]
	v_add_f64_e32 v[84:85], v[20:21], v[24:25]
	v_add_f64_e32 v[86:87], v[22:23], v[26:27]
	v_add_f64_e64 v[20:21], v[20:21], -v[24:25]
	v_add_f64_e64 v[22:23], v[22:23], -v[26:27]
	v_fma_f64 v[24:25], v[28:29], s[2:3], v[32:33]
	v_fma_f64 v[26:27], v[30:31], s[2:3], v[34:35]
	;; [unrolled: 1-line block ×5, first 2 shown]
	v_fma_f64 v[52:53], v[28:29], s[16:17], -v[56:57]
	v_fma_f64 v[54:55], v[30:31], s[16:17], -v[58:59]
	v_fma_f64 v[56:57], v[70:71], s[22:23], v[74:75]
	v_fma_f64 v[58:59], v[72:73], s[22:23], v[76:77]
	;; [unrolled: 1-line block ×5, first 2 shown]
	v_add_f64_e32 v[80:81], v[48:49], v[60:61]
	v_add_f64_e32 v[82:83], v[64:65], v[62:63]
	;; [unrolled: 1-line block ×6, first 2 shown]
	v_fma_f64 v[24:25], v[20:21], s[18:19], v[24:25]
	v_fma_f64 v[26:27], v[22:23], s[18:19], v[26:27]
	v_fma_f64 v[32:33], v[84:85], -0.5, v[32:33]
	s_wait_alu 0xfffe
	v_fma_f64 v[34:35], v[20:21], s[20:21], v[34:35]
	v_fma_f64 v[50:51], v[22:23], s[20:21], v[50:51]
	;; [unrolled: 1-line block ×4, first 2 shown]
	v_fma_f64 v[52:53], v[84:85], -0.5, v[56:57]
	v_fma_f64 v[54:55], v[86:87], -0.5, v[58:59]
	;; [unrolled: 1-line block ×5, first 2 shown]
	v_add_f64_e64 v[76:77], v[80:81], -v[28:29]
	v_add_f64_e64 v[78:79], v[82:83], -v[30:31]
	v_add_f64_e32 v[40:41], v[40:41], v[88:89]
	v_add_f64_e32 v[42:43], v[42:43], v[90:91]
	v_fma_f64 v[82:83], v[98:99], -0.5, v[94:95]
	v_fma_f64 v[80:81], v[96:97], -0.5, v[92:93]
	v_fma_f64 v[84:85], v[48:49], s[24:25], v[24:25]
	v_fma_f64 v[48:49], v[64:65], s[24:25], v[26:27]
	v_fma_f64 v[24:25], v[70:71], s[26:27], v[32:33]
	v_fma_f64 v[64:65], v[28:29], s[24:25], v[34:35]
	v_fma_f64 v[50:51], v[30:31], s[24:25], v[50:51]
	v_fma_f64 v[60:61], v[60:61], s[24:25], v[20:21]
	v_fma_f64 v[62:63], v[62:63], s[24:25], v[22:23]
	v_fma_f64 v[26:27], v[44:45], s[26:27], v[52:53]
	v_fma_f64 v[30:31], v[46:47], s[26:27], v[54:55]
	v_fma_f64 v[32:33], v[66:67], s[26:27], v[56:57]
	v_fma_f64 v[34:35], v[68:69], s[26:27], v[58:59]
	v_fma_f64 v[44:45], v[72:73], s[26:27], v[74:75]
	v_mul_f64_e32 v[46:47], s[18:19], v[76:77]
	v_mul_f64_e32 v[52:53], s[18:19], v[78:79]
	v_add_f64_e32 v[36:37], v[36:37], v[40:41]
	v_add_f64_e32 v[38:39], v[38:39], v[42:43]
	v_fma_f64 v[22:23], v[76:77], s[18:19], v[82:83]
	v_fma_f64 v[20:21], v[78:79], s[20:21], v[80:81]
	v_add_f64_e64 v[24:25], v[24:25], -v[48:49]
	v_add_f64_e64 v[28:29], v[26:27], -v[62:63]
	v_add_f64_e32 v[30:31], v[60:61], v[30:31]
	v_add_f64_e64 v[32:33], v[32:33], -v[50:51]
	v_add_f64_e32 v[34:35], v[64:65], v[34:35]
	v_add_f64_e32 v[26:27], v[84:85], v[44:45]
	v_add_f64_e32 v[16:17], v[16:17], v[36:37]
	v_add_f64_e32 v[18:19], v[18:19], v[38:39]
	v_fma_f64 v[38:39], v[46:47], -2.0, v[22:23]
	v_fma_f64 v[36:37], v[52:53], 2.0, v[20:21]
	v_fma_f64 v[40:41], v[48:49], 2.0, v[24:25]
	;; [unrolled: 1-line block ×3, first 2 shown]
	v_fma_f64 v[46:47], v[60:61], -2.0, v[30:31]
	v_fma_f64 v[48:49], v[50:51], 2.0, v[32:33]
	v_fma_f64 v[50:51], v[64:65], -2.0, v[34:35]
	v_fma_f64 v[42:43], v[84:85], -2.0, v[26:27]
	ds_store_b128 v255, v[16:19]
	ds_store_b128 v255, v[24:27] offset:3536
	ds_store_b128 v255, v[32:35] offset:7072
	;; [unrolled: 1-line block ×8, first 2 shown]
	s_and_saveexec_b32 s1, s0
	s_cbranch_execz .LBB0_21
; %bb.20:
	s_clause 0x5
	scratch_load_b128 v[60:63], off, off offset:492 th:TH_LOAD_LU
	scratch_load_b128 v[48:51], off, off offset:444 th:TH_LOAD_LU
	;; [unrolled: 1-line block ×6, first 2 shown]
	s_wait_loadcnt 0x5
	v_mul_f64_e32 v[20:21], v[62:63], v[126:127]
	v_mul_f64_e32 v[26:27], v[62:63], v[124:125]
	s_clause 0x1
	scratch_load_b128 v[44:47], off, off offset:428 th:TH_LOAD_LU
	scratch_load_b128 v[62:65], off, off offset:12 th:TH_LOAD_LU
	s_wait_loadcnt 0x6
	v_mul_f64_e32 v[16:17], v[50:51], v[14:15]
	s_wait_loadcnt 0x5
	v_mul_f64_e32 v[18:19], v[58:59], v[130:131]
	;; [unrolled: 2-line block ×3, first 2 shown]
	v_mul_f64_e32 v[24:25], v[50:51], v[12:13]
	v_mul_f64_e32 v[28:29], v[58:59], v[128:129]
	;; [unrolled: 1-line block ×3, first 2 shown]
	s_wait_loadcnt 0x2
	v_mul_f64_e32 v[32:33], v[42:43], v[10:11]
	v_mul_f64_e32 v[38:39], v[42:43], v[8:9]
	v_fma_f64 v[12:13], v[48:49], v[12:13], v[16:17]
	v_fma_f64 v[16:17], v[56:57], v[128:129], v[18:19]
	;; [unrolled: 1-line block ×3, first 2 shown]
	v_fma_f64 v[20:21], v[52:53], v[68:69], -v[22:23]
	v_fma_f64 v[14:15], v[48:49], v[14:15], -v[24:25]
	;; [unrolled: 1-line block ×4, first 2 shown]
	v_fma_f64 v[26:27], v[52:53], v[66:67], v[30:31]
	scratch_load_b128 v[56:59], off, off offset:396 th:TH_LOAD_LU ; 16-byte Folded Reload
	v_fma_f64 v[8:9], v[40:41], v[8:9], v[32:33]
	v_fma_f64 v[10:11], v[40:41], v[10:11], -v[38:39]
	v_add_f64_e64 v[40:41], v[16:17], -v[18:19]
	v_add_f64_e32 v[50:51], v[16:17], v[18:19]
	v_add_f64_e32 v[42:43], v[14:15], v[20:21]
	v_add_f64_e64 v[14:15], v[14:15], -v[20:21]
	v_add_f64_e32 v[48:49], v[24:25], v[22:23]
	v_mul_f64_e32 v[20:21], s[2:3], v[40:41]
	s_wait_loadcnt 0x1
	v_mul_f64_e32 v[34:35], v[46:47], v[64:65]
	v_mul_f64_e32 v[36:37], v[46:47], v[62:63]
	v_add_f64_e32 v[46:47], v[12:13], v[26:27]
	v_add_f64_e64 v[12:13], v[12:13], -v[26:27]
	v_fma_f64 v[26:27], v[42:43], s[14:15], v[6:7]
	v_fma_f64 v[28:29], v[44:45], v[62:63], v[34:35]
	v_fma_f64 v[30:31], v[44:45], v[64:65], -v[36:37]
	s_clause 0x1
	scratch_load_b128 v[60:63], off, off offset:412 th:TH_LOAD_LU
	scratch_load_b128 v[64:67], off, off offset:44 th:TH_LOAD_LU
	v_add_f64_e64 v[44:45], v[24:25], -v[22:23]
	v_fma_f64 v[20:21], v[12:13], s[16:17], -v[20:21]
	v_fma_f64 v[26:27], v[48:49], s[22:23], v[26:27]
	s_wait_loadcnt 0x2
	v_mul_f64_e32 v[32:33], v[58:59], v[2:3]
	v_mul_f64_e32 v[36:37], v[58:59], v[0:1]
	v_add_f64_e64 v[52:53], v[8:9], -v[28:29]
	v_add_f64_e32 v[54:55], v[10:11], v[30:31]
	v_add_f64_e32 v[8:9], v[8:9], v[28:29]
	v_add_f64_e64 v[10:11], v[10:11], -v[30:31]
	v_mul_f64_e32 v[58:59], s[16:17], v[44:45]
	v_fma_f64 v[0:1], v[56:57], v[0:1], v[32:33]
	v_fma_f64 v[2:3], v[56:57], v[2:3], -v[36:37]
	v_mul_f64_e32 v[32:33], s[2:3], v[44:45]
	v_mul_f64_e32 v[36:37], s[16:17], v[40:41]
	v_fma_f64 v[56:57], v[50:51], s[14:15], v[4:5]
	v_add_f64_e32 v[72:73], v[42:43], v[54:55]
	v_add_f64_e32 v[74:75], v[46:47], v[8:9]
	;; [unrolled: 1-line block ×3, first 2 shown]
	s_wait_loadcnt 0x0
	v_mul_f64_e32 v[34:35], v[62:63], v[64:65]
	v_mul_f64_e32 v[38:39], v[62:63], v[66:67]
	v_fma_f64 v[62:63], v[54:55], s[14:15], v[6:7]
	s_delay_alu instid0(VALU_DEP_3) | instskip(NEXT) | instid1(VALU_DEP_3)
	v_fma_f64 v[28:29], v[60:61], v[66:67], -v[34:35]
	v_fma_f64 v[30:31], v[60:61], v[64:65], v[38:39]
	v_fma_f64 v[34:35], v[46:47], s[14:15], v[4:5]
	;; [unrolled: 1-line block ×3, first 2 shown]
	v_mul_f64_e32 v[60:61], s[10:11], v[52:53]
	v_fma_f64 v[64:65], v[8:9], s[14:15], v[4:5]
	v_mul_f64_e32 v[66:67], s[10:11], v[10:11]
	v_add_f64_e32 v[68:69], v[2:3], v[28:29]
	v_add_f64_e32 v[70:71], v[0:1], v[30:31]
	v_add_f64_e64 v[0:1], v[0:1], -v[30:31]
	v_add_f64_e64 v[2:3], v[2:3], -v[28:29]
	v_fma_f64 v[28:29], v[14:15], s[16:17], -v[32:33]
	v_fma_f64 v[30:31], v[50:51], s[22:23], v[34:35]
	v_fma_f64 v[32:33], v[52:53], s[2:3], v[36:37]
	;; [unrolled: 1-line block ×9, first 2 shown]
	v_add_f64_e32 v[64:65], v[40:41], v[52:53]
	v_add_f64_e32 v[80:81], v[68:69], v[72:73]
	v_add_f64_e32 v[82:83], v[70:71], v[74:75]
	v_fma_f64 v[20:21], v[0:1], s[18:19], v[20:21]
	v_fma_f64 v[26:27], v[68:69], -0.5, v[26:27]
	v_fma_f64 v[28:29], v[2:3], s[18:19], v[28:29]
	v_fma_f64 v[30:31], v[70:71], -0.5, v[30:31]
	v_add_f64_e32 v[66:67], v[6:7], v[68:69]
	v_add_f64_e32 v[76:77], v[4:5], v[70:71]
	;; [unrolled: 1-line block ×4, first 2 shown]
	v_fma_f64 v[32:33], v[0:1], s[20:21], v[32:33]
	v_fma_f64 v[34:35], v[68:69], -0.5, v[34:35]
	v_fma_f64 v[36:37], v[70:71], -0.5, v[36:37]
	v_fma_f64 v[38:39], v[2:3], s[20:21], v[38:39]
	v_fma_f64 v[0:1], v[0:1], s[18:19], v[56:57]
	v_fma_f64 v[56:57], v[68:69], -0.5, v[58:59]
	v_fma_f64 v[58:59], v[70:71], -0.5, v[60:61]
	v_fma_f64 v[2:3], v[2:3], s[18:19], v[62:63]
	v_add_f64_e64 v[60:61], v[64:65], -v[12:13]
	v_add_f64_e64 v[62:63], v[78:79], -v[14:15]
	v_add_f64_e32 v[24:25], v[24:25], v[80:81]
	v_add_f64_e32 v[16:17], v[16:17], v[82:83]
	v_fma_f64 v[52:53], v[52:53], s[24:25], v[20:21]
	v_fma_f64 v[20:21], v[54:55], s[26:27], v[26:27]
	;; [unrolled: 1-line block ×4, first 2 shown]
	v_fma_f64 v[64:65], v[72:73], -0.5, v[66:67]
	v_fma_f64 v[66:67], v[74:75], -0.5, v[76:77]
	v_fma_f64 v[30:31], v[12:13], s[24:25], v[32:33]
	v_fma_f64 v[12:13], v[42:43], s[26:27], v[34:35]
	;; [unrolled: 1-line block ×8, first 2 shown]
	v_mul_f64_e32 v[42:43], s[18:19], v[60:61]
	v_mul_f64_e32 v[44:45], s[18:19], v[62:63]
	v_add_f64_e32 v[22:23], v[22:23], v[24:25]
	v_add_f64_e32 v[24:25], v[18:19], v[16:17]
	v_add_f64_e32 v[10:11], v[52:53], v[20:21]
	v_add_f64_e64 v[8:9], v[8:9], -v[28:29]
	v_fma_f64 v[2:3], v[60:61], s[18:19], v[64:65]
	v_fma_f64 v[0:1], v[62:63], s[20:21], v[66:67]
	v_add_f64_e32 v[14:15], v[30:31], v[12:13]
	v_add_f64_e64 v[12:13], v[26:27], -v[32:33]
	v_add_f64_e32 v[18:19], v[34:35], v[36:37]
	v_add_f64_e64 v[16:17], v[38:39], -v[40:41]
	v_add_f64_e32 v[6:7], v[6:7], v[22:23]
	v_add_f64_e32 v[4:5], v[4:5], v[24:25]
	v_fma_f64 v[26:27], v[52:53], -2.0, v[10:11]
	v_fma_f64 v[24:25], v[28:29], 2.0, v[8:9]
	v_fma_f64 v[22:23], v[42:43], -2.0, v[2:3]
	v_fma_f64 v[20:21], v[44:45], 2.0, v[0:1]
	;; [unrolled: 2-line block ×4, first 2 shown]
	ds_store_b128 v255, v[4:7] offset:2448
	ds_store_b128 v255, v[16:19] offset:5984
	;; [unrolled: 1-line block ×9, first 2 shown]
.LBB0_21:
	s_wait_alu 0xfffe
	s_or_b32 exec_lo, exec_lo, s1
	global_wb scope:SCOPE_SE
	s_wait_storecnt_dscnt 0x0
	s_barrier_signal -1
	s_barrier_wait -1
	global_inv scope:SCOPE_SE
	s_and_b32 exec_lo, exec_lo, vcc_lo
	s_cbranch_execz .LBB0_23
; %bb.22:
	global_load_b128 v[0:3], v255, s[8:9]
	ds_load_b128 v[4:7], v255
	ds_load_b128 v[8:11], v255 offset:1872
	ds_load_b128 v[12:15], v255 offset:29952
	s_mov_b32 s0, 0x10798010
	s_mov_b32 s1, 0x3f407980
	s_mul_u64 s[2:3], s[4:5], 0x750
	scratch_load_b32 v19, off, off th:TH_LOAD_LU ; 4-byte Folded Reload
	s_wait_loadcnt_dscnt 0x102
	v_mul_f64_e32 v[16:17], v[6:7], v[2:3]
	v_mul_f64_e32 v[2:3], v[4:5], v[2:3]
	s_delay_alu instid0(VALU_DEP_2) | instskip(NEXT) | instid1(VALU_DEP_2)
	v_fma_f64 v[4:5], v[4:5], v[0:1], v[16:17]
	v_fma_f64 v[2:3], v[0:1], v[6:7], -v[2:3]
	scratch_load_b64 v[0:1], off, off offset:4 th:TH_LOAD_LU ; 8-byte Folded Reload
	s_wait_loadcnt 0x1
	v_mad_co_u64_u32 v[16:17], null, s4, v19, 0
	s_wait_alu 0xfffe
	v_mul_f64_e32 v[2:3], s[0:1], v[2:3]
	s_wait_loadcnt 0x0
	v_mov_b32_e32 v18, v0
	v_mul_f64_e32 v[0:1], s[0:1], v[4:5]
	s_delay_alu instid0(VALU_DEP_4) | instskip(NEXT) | instid1(VALU_DEP_3)
	v_mov_b32_e32 v5, v17
	v_mad_co_u64_u32 v[6:7], null, s6, v18, 0
	s_delay_alu instid0(VALU_DEP_1) | instskip(NEXT) | instid1(VALU_DEP_1)
	v_mov_b32_e32 v4, v7
	v_mad_co_u64_u32 v[17:18], null, s7, v18, v[4:5]
	s_delay_alu instid0(VALU_DEP_3) | instskip(NEXT) | instid1(VALU_DEP_2)
	v_mad_co_u64_u32 v[4:5], null, s5, v19, v[5:6]
	v_mov_b32_e32 v7, v17
	s_delay_alu instid0(VALU_DEP_2) | instskip(NEXT) | instid1(VALU_DEP_2)
	v_mov_b32_e32 v17, v4
	v_lshlrev_b64_e32 v[4:5], 4, v[6:7]
	s_delay_alu instid0(VALU_DEP_2) | instskip(NEXT) | instid1(VALU_DEP_2)
	v_lshlrev_b64_e32 v[6:7], 4, v[16:17]
	v_add_co_u32 v4, vcc_lo, s12, v4
	s_delay_alu instid0(VALU_DEP_3) | instskip(NEXT) | instid1(VALU_DEP_2)
	v_add_co_ci_u32_e32 v5, vcc_lo, s13, v5, vcc_lo
	v_add_co_u32 v4, vcc_lo, v4, v6
	s_wait_alu 0xfffd
	s_delay_alu instid0(VALU_DEP_2) | instskip(NEXT) | instid1(VALU_DEP_2)
	v_add_co_ci_u32_e32 v5, vcc_lo, v5, v7, vcc_lo
	v_add_co_u32 v16, vcc_lo, v4, s2
	global_store_b128 v[4:5], v[0:3], off
	s_wait_alu 0xfffd
	v_add_co_ci_u32_e32 v17, vcc_lo, s3, v5, vcc_lo
	global_load_b128 v[0:3], v255, s[8:9] offset:1872
	s_wait_loadcnt_dscnt 0x1
	v_mul_f64_e32 v[6:7], v[10:11], v[2:3]
	v_mul_f64_e32 v[2:3], v[8:9], v[2:3]
	s_delay_alu instid0(VALU_DEP_2) | instskip(NEXT) | instid1(VALU_DEP_2)
	v_fma_f64 v[6:7], v[8:9], v[0:1], v[6:7]
	v_fma_f64 v[2:3], v[0:1], v[10:11], -v[2:3]
	s_delay_alu instid0(VALU_DEP_2) | instskip(NEXT) | instid1(VALU_DEP_2)
	v_mul_f64_e32 v[0:1], s[0:1], v[6:7]
	v_mul_f64_e32 v[2:3], s[0:1], v[2:3]
	global_store_b128 v[16:17], v[0:3], off
	global_load_b128 v[0:3], v255, s[8:9] offset:3744
	ds_load_b128 v[4:7], v255 offset:3744
	ds_load_b128 v[8:11], v255 offset:5616
	s_wait_loadcnt_dscnt 0x1
	v_mul_f64_e32 v[18:19], v[6:7], v[2:3]
	v_mul_f64_e32 v[2:3], v[4:5], v[2:3]
	s_delay_alu instid0(VALU_DEP_2) | instskip(NEXT) | instid1(VALU_DEP_2)
	v_fma_f64 v[4:5], v[4:5], v[0:1], v[18:19]
	v_fma_f64 v[2:3], v[0:1], v[6:7], -v[2:3]
	s_delay_alu instid0(VALU_DEP_2) | instskip(NEXT) | instid1(VALU_DEP_2)
	v_mul_f64_e32 v[0:1], s[0:1], v[4:5]
	v_mul_f64_e32 v[2:3], s[0:1], v[2:3]
	v_add_co_u32 v4, vcc_lo, v16, s2
	s_wait_alu 0xfffd
	v_add_co_ci_u32_e32 v5, vcc_lo, s3, v17, vcc_lo
	s_delay_alu instid0(VALU_DEP_2) | instskip(SKIP_1) | instid1(VALU_DEP_2)
	v_add_co_u32 v16, vcc_lo, v4, s2
	s_wait_alu 0xfffd
	v_add_co_ci_u32_e32 v17, vcc_lo, s3, v5, vcc_lo
	global_store_b128 v[4:5], v[0:3], off
	global_load_b128 v[0:3], v255, s[8:9] offset:5616
	s_wait_loadcnt_dscnt 0x0
	v_mul_f64_e32 v[6:7], v[10:11], v[2:3]
	v_mul_f64_e32 v[2:3], v[8:9], v[2:3]
	s_delay_alu instid0(VALU_DEP_2) | instskip(NEXT) | instid1(VALU_DEP_2)
	v_fma_f64 v[6:7], v[8:9], v[0:1], v[6:7]
	v_fma_f64 v[2:3], v[0:1], v[10:11], -v[2:3]
	s_delay_alu instid0(VALU_DEP_2) | instskip(NEXT) | instid1(VALU_DEP_2)
	v_mul_f64_e32 v[0:1], s[0:1], v[6:7]
	v_mul_f64_e32 v[2:3], s[0:1], v[2:3]
	global_store_b128 v[16:17], v[0:3], off
	global_load_b128 v[0:3], v255, s[8:9] offset:7488
	ds_load_b128 v[4:7], v255 offset:7488
	ds_load_b128 v[8:11], v255 offset:9360
	s_wait_loadcnt_dscnt 0x1
	v_mul_f64_e32 v[18:19], v[6:7], v[2:3]
	v_mul_f64_e32 v[2:3], v[4:5], v[2:3]
	s_delay_alu instid0(VALU_DEP_2) | instskip(NEXT) | instid1(VALU_DEP_2)
	v_fma_f64 v[4:5], v[4:5], v[0:1], v[18:19]
	v_fma_f64 v[2:3], v[0:1], v[6:7], -v[2:3]
	s_delay_alu instid0(VALU_DEP_2) | instskip(NEXT) | instid1(VALU_DEP_2)
	v_mul_f64_e32 v[0:1], s[0:1], v[4:5]
	v_mul_f64_e32 v[2:3], s[0:1], v[2:3]
	v_add_co_u32 v4, vcc_lo, v16, s2
	s_wait_alu 0xfffd
	v_add_co_ci_u32_e32 v5, vcc_lo, s3, v17, vcc_lo
	s_delay_alu instid0(VALU_DEP_2) | instskip(SKIP_1) | instid1(VALU_DEP_2)
	v_add_co_u32 v16, vcc_lo, v4, s2
	s_wait_alu 0xfffd
	v_add_co_ci_u32_e32 v17, vcc_lo, s3, v5, vcc_lo
	global_store_b128 v[4:5], v[0:3], off
	;; [unrolled: 31-line block ×6, first 2 shown]
	global_load_b128 v[0:3], v255, s[8:9] offset:24336
	s_wait_loadcnt_dscnt 0x0
	v_mul_f64_e32 v[6:7], v[10:11], v[2:3]
	v_mul_f64_e32 v[2:3], v[8:9], v[2:3]
	s_delay_alu instid0(VALU_DEP_2) | instskip(NEXT) | instid1(VALU_DEP_2)
	v_fma_f64 v[6:7], v[8:9], v[0:1], v[6:7]
	v_fma_f64 v[2:3], v[0:1], v[10:11], -v[2:3]
	s_delay_alu instid0(VALU_DEP_2) | instskip(NEXT) | instid1(VALU_DEP_2)
	v_mul_f64_e32 v[0:1], s[0:1], v[6:7]
	v_mul_f64_e32 v[2:3], s[0:1], v[2:3]
	global_store_b128 v[16:17], v[0:3], off
	global_load_b128 v[0:3], v255, s[8:9] offset:26208
	ds_load_b128 v[4:7], v255 offset:26208
	ds_load_b128 v[8:11], v255 offset:28080
	s_wait_loadcnt_dscnt 0x1
	v_mul_f64_e32 v[18:19], v[6:7], v[2:3]
	v_mul_f64_e32 v[2:3], v[4:5], v[2:3]
	s_delay_alu instid0(VALU_DEP_2) | instskip(NEXT) | instid1(VALU_DEP_2)
	v_fma_f64 v[4:5], v[4:5], v[0:1], v[18:19]
	v_fma_f64 v[2:3], v[0:1], v[6:7], -v[2:3]
	s_delay_alu instid0(VALU_DEP_2) | instskip(NEXT) | instid1(VALU_DEP_2)
	v_mul_f64_e32 v[0:1], s[0:1], v[4:5]
	v_mul_f64_e32 v[2:3], s[0:1], v[2:3]
	v_add_co_u32 v4, vcc_lo, v16, s2
	s_wait_alu 0xfffd
	v_add_co_ci_u32_e32 v5, vcc_lo, s3, v17, vcc_lo
	global_store_b128 v[4:5], v[0:3], off
	global_load_b128 v[0:3], v255, s[8:9] offset:28080
	v_add_co_u32 v4, vcc_lo, v4, s2
	s_wait_alu 0xfffd
	v_add_co_ci_u32_e32 v5, vcc_lo, s3, v5, vcc_lo
	s_wait_loadcnt_dscnt 0x0
	v_mul_f64_e32 v[6:7], v[10:11], v[2:3]
	v_mul_f64_e32 v[2:3], v[8:9], v[2:3]
	s_delay_alu instid0(VALU_DEP_2) | instskip(NEXT) | instid1(VALU_DEP_2)
	v_fma_f64 v[6:7], v[8:9], v[0:1], v[6:7]
	v_fma_f64 v[2:3], v[0:1], v[10:11], -v[2:3]
	s_delay_alu instid0(VALU_DEP_2) | instskip(NEXT) | instid1(VALU_DEP_2)
	v_mul_f64_e32 v[0:1], s[0:1], v[6:7]
	v_mul_f64_e32 v[2:3], s[0:1], v[2:3]
	global_store_b128 v[4:5], v[0:3], off
	global_load_b128 v[0:3], v255, s[8:9] offset:29952
	v_add_co_u32 v4, vcc_lo, v4, s2
	s_wait_alu 0xfffd
	v_add_co_ci_u32_e32 v5, vcc_lo, s3, v5, vcc_lo
	s_wait_loadcnt 0x0
	v_mul_f64_e32 v[6:7], v[14:15], v[2:3]
	v_mul_f64_e32 v[2:3], v[12:13], v[2:3]
	s_delay_alu instid0(VALU_DEP_2) | instskip(NEXT) | instid1(VALU_DEP_2)
	v_fma_f64 v[6:7], v[12:13], v[0:1], v[6:7]
	v_fma_f64 v[2:3], v[0:1], v[14:15], -v[2:3]
	s_delay_alu instid0(VALU_DEP_2) | instskip(NEXT) | instid1(VALU_DEP_2)
	v_mul_f64_e32 v[0:1], s[0:1], v[6:7]
	v_mul_f64_e32 v[2:3], s[0:1], v[2:3]
	global_store_b128 v[4:5], v[0:3], off
.LBB0_23:
	s_endpgm
	.section	.rodata,"a",@progbits
	.p2align	6, 0x0
	.amdhsa_kernel bluestein_single_fwd_len1989_dim1_dp_op_CI_CI
		.amdhsa_group_segment_fixed_size 31824
		.amdhsa_private_segment_fixed_size 608
		.amdhsa_kernarg_size 104
		.amdhsa_user_sgpr_count 2
		.amdhsa_user_sgpr_dispatch_ptr 0
		.amdhsa_user_sgpr_queue_ptr 0
		.amdhsa_user_sgpr_kernarg_segment_ptr 1
		.amdhsa_user_sgpr_dispatch_id 0
		.amdhsa_user_sgpr_private_segment_size 0
		.amdhsa_wavefront_size32 1
		.amdhsa_uses_dynamic_stack 0
		.amdhsa_enable_private_segment 1
		.amdhsa_system_sgpr_workgroup_id_x 1
		.amdhsa_system_sgpr_workgroup_id_y 0
		.amdhsa_system_sgpr_workgroup_id_z 0
		.amdhsa_system_sgpr_workgroup_info 0
		.amdhsa_system_vgpr_workitem_id 0
		.amdhsa_next_free_vgpr 256
		.amdhsa_next_free_sgpr 60
		.amdhsa_reserve_vcc 1
		.amdhsa_float_round_mode_32 0
		.amdhsa_float_round_mode_16_64 0
		.amdhsa_float_denorm_mode_32 3
		.amdhsa_float_denorm_mode_16_64 3
		.amdhsa_fp16_overflow 0
		.amdhsa_workgroup_processor_mode 1
		.amdhsa_memory_ordered 1
		.amdhsa_forward_progress 0
		.amdhsa_round_robin_scheduling 0
		.amdhsa_exception_fp_ieee_invalid_op 0
		.amdhsa_exception_fp_denorm_src 0
		.amdhsa_exception_fp_ieee_div_zero 0
		.amdhsa_exception_fp_ieee_overflow 0
		.amdhsa_exception_fp_ieee_underflow 0
		.amdhsa_exception_fp_ieee_inexact 0
		.amdhsa_exception_int_div_zero 0
	.end_amdhsa_kernel
	.text
.Lfunc_end0:
	.size	bluestein_single_fwd_len1989_dim1_dp_op_CI_CI, .Lfunc_end0-bluestein_single_fwd_len1989_dim1_dp_op_CI_CI
                                        ; -- End function
	.section	.AMDGPU.csdata,"",@progbits
; Kernel info:
; codeLenInByte = 29236
; NumSgprs: 62
; NumVgprs: 256
; ScratchSize: 608
; MemoryBound: 0
; FloatMode: 240
; IeeeMode: 1
; LDSByteSize: 31824 bytes/workgroup (compile time only)
; SGPRBlocks: 7
; VGPRBlocks: 31
; NumSGPRsForWavesPerEU: 62
; NumVGPRsForWavesPerEU: 256
; Occupancy: 5
; WaveLimiterHint : 1
; COMPUTE_PGM_RSRC2:SCRATCH_EN: 1
; COMPUTE_PGM_RSRC2:USER_SGPR: 2
; COMPUTE_PGM_RSRC2:TRAP_HANDLER: 0
; COMPUTE_PGM_RSRC2:TGID_X_EN: 1
; COMPUTE_PGM_RSRC2:TGID_Y_EN: 0
; COMPUTE_PGM_RSRC2:TGID_Z_EN: 0
; COMPUTE_PGM_RSRC2:TIDIG_COMP_CNT: 0
	.text
	.p2alignl 7, 3214868480
	.fill 96, 4, 3214868480
	.type	__hip_cuid_bb5c29e74d39c6ff,@object ; @__hip_cuid_bb5c29e74d39c6ff
	.section	.bss,"aw",@nobits
	.globl	__hip_cuid_bb5c29e74d39c6ff
__hip_cuid_bb5c29e74d39c6ff:
	.byte	0                               ; 0x0
	.size	__hip_cuid_bb5c29e74d39c6ff, 1

	.ident	"AMD clang version 19.0.0git (https://github.com/RadeonOpenCompute/llvm-project roc-6.4.0 25133 c7fe45cf4b819c5991fe208aaa96edf142730f1d)"
	.section	".note.GNU-stack","",@progbits
	.addrsig
	.addrsig_sym __hip_cuid_bb5c29e74d39c6ff
	.amdgpu_metadata
---
amdhsa.kernels:
  - .args:
      - .actual_access:  read_only
        .address_space:  global
        .offset:         0
        .size:           8
        .value_kind:     global_buffer
      - .actual_access:  read_only
        .address_space:  global
        .offset:         8
        .size:           8
        .value_kind:     global_buffer
      - .actual_access:  read_only
        .address_space:  global
        .offset:         16
        .size:           8
        .value_kind:     global_buffer
      - .actual_access:  read_only
        .address_space:  global
        .offset:         24
        .size:           8
        .value_kind:     global_buffer
      - .actual_access:  read_only
        .address_space:  global
        .offset:         32
        .size:           8
        .value_kind:     global_buffer
      - .offset:         40
        .size:           8
        .value_kind:     by_value
      - .address_space:  global
        .offset:         48
        .size:           8
        .value_kind:     global_buffer
      - .address_space:  global
        .offset:         56
        .size:           8
        .value_kind:     global_buffer
      - .address_space:  global
        .offset:         64
        .size:           8
        .value_kind:     global_buffer
      - .address_space:  global
        .offset:         72
        .size:           8
        .value_kind:     global_buffer
      - .offset:         80
        .size:           4
        .value_kind:     by_value
      - .address_space:  global
        .offset:         88
        .size:           8
        .value_kind:     global_buffer
      - .address_space:  global
        .offset:         96
        .size:           8
        .value_kind:     global_buffer
    .group_segment_fixed_size: 31824
    .kernarg_segment_align: 8
    .kernarg_segment_size: 104
    .language:       OpenCL C
    .language_version:
      - 2
      - 0
    .max_flat_workgroup_size: 153
    .name:           bluestein_single_fwd_len1989_dim1_dp_op_CI_CI
    .private_segment_fixed_size: 608
    .sgpr_count:     62
    .sgpr_spill_count: 0
    .symbol:         bluestein_single_fwd_len1989_dim1_dp_op_CI_CI.kd
    .uniform_work_group_size: 1
    .uses_dynamic_stack: false
    .vgpr_count:     256
    .vgpr_spill_count: 199
    .wavefront_size: 32
    .workgroup_processor_mode: 1
amdhsa.target:   amdgcn-amd-amdhsa--gfx1201
amdhsa.version:
  - 1
  - 2
...

	.end_amdgpu_metadata
